;; amdgpu-corpus repo=ROCm/rocFFT kind=compiled arch=gfx1100 opt=O3
	.text
	.amdgcn_target "amdgcn-amd-amdhsa--gfx1100"
	.amdhsa_code_object_version 6
	.protected	bluestein_single_fwd_len1155_dim1_dp_op_CI_CI ; -- Begin function bluestein_single_fwd_len1155_dim1_dp_op_CI_CI
	.globl	bluestein_single_fwd_len1155_dim1_dp_op_CI_CI
	.p2align	8
	.type	bluestein_single_fwd_len1155_dim1_dp_op_CI_CI,@function
bluestein_single_fwd_len1155_dim1_dp_op_CI_CI: ; @bluestein_single_fwd_len1155_dim1_dp_op_CI_CI
; %bb.0:
	s_load_b128 s[16:19], s[0:1], 0x28
	v_mul_u32_u24_e32 v1, 0x4a8, v0
	s_mov_b32 s2, exec_lo
	v_mov_b32_e32 v7, 0
	s_delay_alu instid0(VALU_DEP_2) | instskip(NEXT) | instid1(VALU_DEP_1)
	v_lshrrev_b32_e32 v1, 16, v1
	v_add_nc_u32_e32 v6, s15, v1
	s_waitcnt lgkmcnt(0)
	s_delay_alu instid0(VALU_DEP_1)
	v_cmpx_gt_u64_e64 s[16:17], v[6:7]
	s_cbranch_execz .LBB0_23
; %bb.1:
	s_load_b128 s[4:7], s[0:1], 0x18
	v_mul_lo_u16 v1, v1, 55
	v_mov_b32_e32 v4, v6
	s_waitcnt lgkmcnt(0)
	s_load_b128 s[8:11], s[4:5], 0x0
	s_load_b64 s[2:3], s[0:1], 0x0
	v_sub_nc_u16 v90, v0, v1
	s_delay_alu instid0(VALU_DEP_1) | instskip(NEXT) | instid1(VALU_DEP_1)
	v_and_b32_e32 v231, 0xffff, v90
	v_lshlrev_b32_e32 v134, 4, v231
	s_waitcnt lgkmcnt(0)
	s_clause 0x2
	global_load_b128 v[91:94], v134, s[2:3]
	global_load_b128 v[95:98], v134, s[2:3] offset:1680
	global_load_b128 v[99:102], v134, s[2:3] offset:3360
	v_mad_u64_u32 v[0:1], null, s10, v6, 0
	v_mad_u64_u32 v[2:3], null, s8, v231, 0
	v_add_co_u32 v112, s4, s2, v134
	s_delay_alu instid0(VALU_DEP_1) | instskip(SKIP_1) | instid1(VALU_DEP_2)
	v_add_co_ci_u32_e64 v113, null, s3, 0, s4
	s_mul_i32 s3, s9, 0x69
	v_add_co_u32 v10, vcc_lo, 0x1000, v112
	s_delay_alu instid0(VALU_DEP_2)
	v_add_co_ci_u32_e32 v11, vcc_lo, 0, v113, vcc_lo
	scratch_store_b64 off, v[4:5], off offset:80 ; 8-byte Folded Spill
	v_mad_u64_u32 v[4:5], null, s11, v6, v[1:2]
	scratch_store_b64 off, v[10:11], off offset:72 ; 8-byte Folded Spill
	v_add_co_u32 v8, vcc_lo, 0x2000, v112
	v_add_co_ci_u32_e32 v9, vcc_lo, 0, v113, vcc_lo
	v_add_co_u32 v42, vcc_lo, 0x3000, v112
	v_mad_u64_u32 v[5:6], null, s9, v231, v[3:4]
	v_mov_b32_e32 v1, v4
	v_add_co_ci_u32_e32 v43, vcc_lo, 0, v113, vcc_lo
	v_add_co_u32 v44, vcc_lo, 0x4000, v112
	s_delay_alu instid0(VALU_DEP_3) | instskip(SKIP_4) | instid1(VALU_DEP_2)
	v_lshlrev_b64 v[0:1], 4, v[0:1]
	v_mov_b32_e32 v3, v5
	v_add_co_ci_u32_e32 v45, vcc_lo, 0, v113, vcc_lo
	s_mul_hi_u32 s4, s8, 0x69
	s_mul_i32 s2, s8, 0x69
	v_lshlrev_b64 v[2:3], 4, v[2:3]
	v_add_co_u32 v0, vcc_lo, s18, v0
	v_add_co_ci_u32_e32 v1, vcc_lo, s19, v1, vcc_lo
	s_add_i32 s3, s4, s3
	s_delay_alu instid0(VALU_DEP_2) | instskip(NEXT) | instid1(VALU_DEP_2)
	v_add_co_u32 v0, vcc_lo, v0, v2
	v_add_co_ci_u32_e32 v1, vcc_lo, v1, v3, vcc_lo
	s_lshl_b64 s[12:13], s[2:3], 4
	s_clause 0x1
	global_load_b128 v[126:129], v[10:11], off offset:944
	global_load_b128 v[122:125], v[10:11], off offset:2624
	v_add_co_u32 v6, vcc_lo, v0, s12
	v_add_co_ci_u32_e32 v7, vcc_lo, s13, v1, vcc_lo
	s_clause 0x1
	global_load_b128 v[114:117], v[8:9], off offset:208
	global_load_b128 v[103:106], v[8:9], off offset:1888
	v_add_co_u32 v10, vcc_lo, v6, s12
	v_add_co_ci_u32_e32 v11, vcc_lo, s13, v7, vcc_lo
	scratch_store_b64 off, v[8:9], off offset:64 ; 8-byte Folded Spill
	v_add_co_u32 v14, vcc_lo, v10, s12
	v_add_co_ci_u32_e32 v15, vcc_lo, s13, v11, vcc_lo
	s_clause 0x1
	global_load_b128 v[118:121], v[8:9], off offset:3568
	global_load_b128 v[107:110], v[42:43], off offset:1152
	v_add_co_u32 v18, vcc_lo, v14, s12
	v_add_co_ci_u32_e32 v19, vcc_lo, s13, v15, vcc_lo
	s_clause 0x1
	global_load_b128 v[2:5], v[0:1], off
	global_load_b128 v[6:9], v[6:7], off
	v_add_co_u32 v0, vcc_lo, v18, s12
	v_add_co_ci_u32_e32 v1, vcc_lo, s13, v19, vcc_lo
	s_clause 0x1
	global_load_b128 v[10:13], v[10:11], off
	global_load_b128 v[14:17], v[14:15], off
	v_add_co_u32 v26, vcc_lo, v0, s12
	v_add_co_ci_u32_e32 v27, vcc_lo, s13, v1, vcc_lo
	global_load_b128 v[22:25], v[0:1], off
	v_add_co_u32 v30, vcc_lo, v26, s12
	v_add_co_ci_u32_e32 v31, vcc_lo, s13, v27, vcc_lo
	;; [unrolled: 3-line block ×5, first 2 shown]
	global_load_b128 v[34:37], v[34:35], off
	global_load_b128 v[38:41], v[38:39], off
	s_clause 0x1
	scratch_store_b64 off, v[42:43], off offset:56
	scratch_store_b64 off, v[44:45], off
	s_clause 0x1
	global_load_b128 v[130:133], v[42:43], off offset:2832
	global_load_b128 v[135:138], v[44:45], off offset:416
	global_load_b128 v[42:45], v[0:1], off
	v_cmp_gt_u16_e32 vcc_lo, 50, v90
	s_waitcnt vmcnt(21)
	scratch_store_b128 off, v[91:94], off offset:88 ; 16-byte Folded Spill
	s_waitcnt vmcnt(20)
	scratch_store_b128 off, v[95:98], off offset:104 ; 16-byte Folded Spill
	;; [unrolled: 2-line block ×9, first 2 shown]
	s_waitcnt vmcnt(12)
	v_mul_f64 v[46:47], v[4:5], v[93:94]
	v_mul_f64 v[48:49], v[2:3], v[93:94]
	s_waitcnt vmcnt(11)
	v_mul_f64 v[50:51], v[8:9], v[97:98]
	v_mul_f64 v[52:53], v[6:7], v[97:98]
	;; [unrolled: 3-line block ×11, first 2 shown]
	v_fma_f64 v[2:3], v[2:3], v[91:92], v[46:47]
	v_fma_f64 v[4:5], v[4:5], v[91:92], -v[48:49]
	v_fma_f64 v[6:7], v[6:7], v[95:96], v[50:51]
	v_fma_f64 v[8:9], v[8:9], v[95:96], -v[52:53]
	scratch_store_b128 off, v[130:133], off offset:232 ; 16-byte Folded Spill
	v_fma_f64 v[10:11], v[10:11], v[99:100], v[54:55]
	v_fma_f64 v[12:13], v[12:13], v[99:100], -v[56:57]
	v_fma_f64 v[14:15], v[14:15], v[126:127], v[58:59]
	v_fma_f64 v[16:17], v[16:17], v[126:127], -v[60:61]
	scratch_store_b128 off, v[135:138], off offset:248 ; 16-byte Folded Spill
	s_load_b64 s[10:11], s[0:1], 0x38
	s_load_b128 s[4:7], s[6:7], 0x0
	v_fma_f64 v[22:23], v[22:23], v[114:115], v[66:67]
	v_fma_f64 v[24:25], v[24:25], v[114:115], -v[68:69]
	v_fma_f64 v[26:27], v[26:27], v[103:104], v[70:71]
	v_fma_f64 v[28:29], v[28:29], v[103:104], -v[72:73]
	;; [unrolled: 2-line block ×4, first 2 shown]
	ds_store_b128 v134, v[2:5]
	ds_store_b128 v134, v[6:9] offset:1680
	ds_store_b128 v134, v[10:13] offset:3360
	;; [unrolled: 1-line block ×5, first 2 shown]
	v_fma_f64 v[34:35], v[34:35], v[107:108], v[78:79]
	v_fma_f64 v[36:37], v[36:37], v[107:108], -v[80:81]
	v_fma_f64 v[38:39], v[38:39], v[130:131], v[82:83]
	v_fma_f64 v[40:41], v[40:41], v[130:131], -v[84:85]
	;; [unrolled: 2-line block ×3, first 2 shown]
	ds_store_b128 v134, v[26:29] offset:10080
	ds_store_b128 v134, v[30:33] offset:11760
	;; [unrolled: 1-line block ×5, first 2 shown]
	s_and_saveexec_b32 s3, vcc_lo
	s_cbranch_execz .LBB0_3
; %bb.2:
	v_mad_u64_u32 v[24:25], null, 0xffffc1d0, s8, v[0:1]
	s_clause 0x1
	global_load_b128 v[0:3], v[112:113], off offset:880
	global_load_b128 v[4:7], v[112:113], off offset:2560
	scratch_load_b64 v[16:17], off, off offset:72 ; 8-byte Folded Reload
	s_mul_i32 s2, s9, 0xffffc1d0
	s_waitcnt vmcnt(0)
	s_clause 0x2
	global_load_b128 v[8:11], v[16:17], off offset:144
	global_load_b128 v[12:15], v[16:17], off offset:1824
	;; [unrolled: 1-line block ×3, first 2 shown]
	scratch_load_b64 v[58:59], off, off offset:64 ; 8-byte Folded Reload
	s_sub_i32 s2, s2, s8
	s_delay_alu instid0(SALU_CYCLE_1) | instskip(SKIP_1) | instid1(VALU_DEP_1)
	v_add_nc_u32_e32 v25, s2, v25
	v_add_co_u32 v28, s2, v24, s12
	v_add_co_ci_u32_e64 v29, s2, s13, v25, s2
	s_delay_alu instid0(VALU_DEP_2)
	v_add_co_u32 v32, s2, v28, s12
	global_load_b128 v[24:27], v[24:25], off
	v_add_co_ci_u32_e64 v33, s2, s13, v29, s2
	v_add_co_u32 v36, s2, v32, s12
	global_load_b128 v[28:31], v[28:29], off
	v_add_co_ci_u32_e64 v37, s2, s13, v33, s2
	;; [unrolled: 3-line block ×3, first 2 shown]
	v_add_co_u32 v44, s2, v40, s12
	s_delay_alu instid0(VALU_DEP_1) | instskip(NEXT) | instid1(VALU_DEP_2)
	v_add_co_ci_u32_e64 v45, s2, s13, v41, s2
	v_add_co_u32 v48, s2, v44, s12
	s_delay_alu instid0(VALU_DEP_1) | instskip(NEXT) | instid1(VALU_DEP_2)
	v_add_co_ci_u32_e64 v49, s2, s13, v45, s2
	;; [unrolled: 3-line block ×5, first 2 shown]
	v_add_co_u32 v84, s2, v72, s12
	s_delay_alu instid0(VALU_DEP_1)
	v_add_co_ci_u32_e64 v85, s2, s13, v73, s2
	s_waitcnt vmcnt(3)
	global_load_b128 v[20:23], v[58:59], off offset:1088
	global_load_b128 v[36:39], v[36:37], off
	global_load_b128 v[40:43], v[40:41], off
	;; [unrolled: 1-line block ×5, first 2 shown]
	global_load_b128 v[56:59], v[58:59], off offset:2768
	scratch_load_b64 v[76:77], off, off offset:56 ; 8-byte Folded Reload
	global_load_b128 v[64:67], v[64:65], off
	s_waitcnt vmcnt(11)
	v_mul_f64 v[88:89], v[26:27], v[2:3]
	v_mul_f64 v[2:3], v[24:25], v[2:3]
	s_waitcnt vmcnt(10)
	v_mul_f64 v[90:91], v[30:31], v[6:7]
	v_mul_f64 v[6:7], v[28:29], v[6:7]
	;; [unrolled: 3-line block ×5, first 2 shown]
	s_waitcnt vmcnt(5)
	v_mul_f64 v[98:99], v[46:47], v[22:23]
	s_waitcnt vmcnt(1)
	s_clause 0x1
	global_load_b128 v[60:63], v[76:77], off offset:352
	global_load_b128 v[68:71], v[76:77], off offset:2032
	global_load_b128 v[72:75], v[72:73], off
	global_load_b128 v[76:79], v[76:77], off offset:3712
	scratch_load_b64 v[80:81], off, off     ; 8-byte Folded Reload
	v_mul_f64 v[100:101], v[44:45], v[22:23]
	v_mul_f64 v[102:103], v[50:51], v[58:59]
	;; [unrolled: 1-line block ×3, first 2 shown]
	v_fma_f64 v[22:23], v[24:25], v[0:1], v[88:89]
	v_fma_f64 v[24:25], v[26:27], v[0:1], -v[2:3]
	v_fma_f64 v[0:1], v[28:29], v[4:5], v[90:91]
	v_fma_f64 v[2:3], v[30:31], v[4:5], -v[6:7]
	;; [unrolled: 2-line block ×3, first 2 shown]
	s_waitcnt vmcnt(0)
	global_load_b128 v[80:83], v[80:81], off offset:1296
	global_load_b128 v[84:87], v[84:85], off
	v_mul_f64 v[104:105], v[54:55], v[62:63]
	v_mul_f64 v[62:63], v[52:53], v[62:63]
	;; [unrolled: 1-line block ×6, first 2 shown]
	v_fma_f64 v[8:9], v[36:37], v[12:13], v[94:95]
	v_fma_f64 v[10:11], v[38:39], v[12:13], -v[14:15]
	v_fma_f64 v[12:13], v[40:41], v[16:17], v[96:97]
	v_fma_f64 v[14:15], v[42:43], v[16:17], -v[18:19]
	;; [unrolled: 2-line block ×7, first 2 shown]
	s_waitcnt vmcnt(0)
	v_mul_f64 v[110:111], v[86:87], v[82:83]
	v_mul_f64 v[82:83], v[84:85], v[82:83]
	s_delay_alu instid0(VALU_DEP_2) | instskip(NEXT) | instid1(VALU_DEP_2)
	v_fma_f64 v[42:43], v[84:85], v[80:81], v[110:111]
	v_fma_f64 v[44:45], v[86:87], v[80:81], -v[82:83]
	ds_store_b128 v134, v[22:25] offset:880
	ds_store_b128 v134, v[0:3] offset:2560
	;; [unrolled: 1-line block ×11, first 2 shown]
.LBB0_3:
	s_or_b32 exec_lo, exec_lo, s3
	s_waitcnt lgkmcnt(0)
	s_waitcnt_vscnt null, 0x0
	s_barrier
	buffer_gl0_inv
	ds_load_b128 v[0:3], v134
	ds_load_b128 v[60:63], v134 offset:1680
	ds_load_b128 v[64:67], v134 offset:3360
	;; [unrolled: 1-line block ×10, first 2 shown]
                                        ; implicit-def: $vgpr8_vgpr9
                                        ; implicit-def: $vgpr32_vgpr33
                                        ; implicit-def: $vgpr44_vgpr45
                                        ; implicit-def: $vgpr52_vgpr53
                                        ; implicit-def: $vgpr48_vgpr49
                                        ; implicit-def: $vgpr28_vgpr29
                                        ; implicit-def: $vgpr24_vgpr25
                                        ; implicit-def: $vgpr20_vgpr21
                                        ; implicit-def: $vgpr16_vgpr17
                                        ; implicit-def: $vgpr12_vgpr13
                                        ; implicit-def: $vgpr4_vgpr5
	s_and_saveexec_b32 s2, vcc_lo
	s_cbranch_execz .LBB0_5
; %bb.4:
	ds_load_b128 v[8:11], v134 offset:880
	ds_load_b128 v[32:35], v134 offset:2560
	;; [unrolled: 1-line block ×11, first 2 shown]
.LBB0_5:
	s_or_b32 exec_lo, exec_lo, s2
	s_waitcnt lgkmcnt(9)
	v_add_f64 v[36:37], v[0:1], v[60:61]
	v_add_f64 v[38:39], v[2:3], v[62:63]
	s_waitcnt lgkmcnt(4)
	v_add_f64 v[40:41], v[94:95], -v[90:91]
	s_mov_b32 s20, 0xf8bb580b
	s_mov_b32 s24, 0x8eee2c13
	;; [unrolled: 1-line block ×28, first 2 shown]
	v_mul_lo_u16 v135, v231, 11
	s_load_b64 s[2:3], s[0:1], 0x8
	v_add_co_u32 v196, s0, v231, 55
	s_waitcnt lgkmcnt(0)
	s_delay_alu instid0(VALU_DEP_2)
	v_and_b32_e32 v135, 0xffff, v135
	s_barrier
	v_add_f64 v[36:37], v[36:37], v[64:65]
	v_add_f64 v[38:39], v[38:39], v[66:67]
	buffer_gl0_inv
	v_lshlrev_b32_e32 v135, 4, v135
	v_add_f64 v[36:37], v[36:37], v[72:73]
	v_add_f64 v[38:39], v[38:39], v[74:75]
	s_delay_alu instid0(VALU_DEP_2) | instskip(NEXT) | instid1(VALU_DEP_2)
	v_add_f64 v[36:37], v[36:37], v[80:81]
	v_add_f64 v[38:39], v[38:39], v[82:83]
	s_delay_alu instid0(VALU_DEP_2) | instskip(NEXT) | instid1(VALU_DEP_2)
	v_add_f64 v[42:43], v[36:37], v[92:93]
	v_add_f64 v[96:97], v[38:39], v[94:95]
	;; [unrolled: 1-line block ×3, first 2 shown]
	v_add_f64 v[38:39], v[92:93], -v[88:89]
	v_add_f64 v[92:93], v[94:95], v[90:91]
	v_add_f64 v[94:95], v[82:83], v[86:87]
	v_add_f64 v[82:83], v[82:83], -v[86:87]
	v_add_f64 v[42:43], v[42:43], v[88:89]
	v_add_f64 v[88:89], v[96:97], v[90:91]
	;; [unrolled: 1-line block ×3, first 2 shown]
	v_add_f64 v[80:81], v[80:81], -v[84:85]
	s_delay_alu instid0(VALU_DEP_4) | instskip(NEXT) | instid1(VALU_DEP_4)
	v_add_f64 v[42:43], v[42:43], v[84:85]
	v_add_f64 v[84:85], v[88:89], v[86:87]
	v_add_f64 v[86:87], v[72:73], v[76:77]
	v_add_f64 v[72:73], v[72:73], -v[76:77]
	v_add_f64 v[88:89], v[74:75], v[78:79]
	v_add_f64 v[74:75], v[74:75], -v[78:79]
	v_add_f64 v[42:43], v[42:43], v[76:77]
	v_add_f64 v[76:77], v[84:85], v[78:79]
	;; [unrolled: 1-line block ×4, first 2 shown]
	v_add_f64 v[64:65], v[64:65], -v[68:69]
	v_add_f64 v[66:67], v[66:67], -v[70:71]
	v_add_f64 v[42:43], v[42:43], v[68:69]
	v_add_f64 v[68:69], v[76:77], v[70:71]
	v_add_f64 v[70:71], v[62:63], -v[58:59]
	v_add_f64 v[76:77], v[60:61], v[56:57]
	v_add_f64 v[62:63], v[62:63], v[58:59]
	;; [unrolled: 3-line block ×3, first 2 shown]
	v_mul_f64 v[42:43], v[70:71], s[20:21]
	v_mul_f64 v[56:57], v[70:71], s[24:25]
	;; [unrolled: 1-line block ×8, first 2 shown]
	v_fma_f64 v[96:97], v[76:77], s[18:19], -v[42:43]
	v_fma_f64 v[42:43], v[76:77], s[18:19], v[42:43]
	v_fma_f64 v[98:99], v[76:77], s[8:9], -v[56:57]
	v_fma_f64 v[56:57], v[76:77], s[8:9], v[56:57]
	v_fma_f64 v[100:101], v[76:77], s[22:23], -v[58:59]
	v_fma_f64 v[58:59], v[76:77], s[22:23], v[58:59]
	v_fma_f64 v[102:103], v[76:77], s[12:13], -v[68:69]
	v_fma_f64 v[68:69], v[76:77], s[12:13], v[68:69]
	v_fma_f64 v[104:105], v[76:77], s[14:15], -v[70:71]
	v_fma_f64 v[70:71], v[76:77], s[14:15], v[70:71]
	v_mul_f64 v[76:77], v[60:61], s[20:21]
	v_mul_f64 v[60:61], v[60:61], s[16:17]
	v_fma_f64 v[116:117], v[62:63], s[8:9], v[106:107]
	v_fma_f64 v[106:107], v[62:63], s[8:9], -v[106:107]
	v_fma_f64 v[118:119], v[62:63], s[22:23], v[108:109]
	v_fma_f64 v[108:109], v[62:63], s[22:23], -v[108:109]
	;; [unrolled: 2-line block ×3, first 2 shown]
	v_add_f64 v[42:43], v[0:1], v[42:43]
	v_add_f64 v[98:99], v[0:1], v[98:99]
	v_add_f64 v[56:57], v[0:1], v[56:57]
	v_add_f64 v[100:101], v[0:1], v[100:101]
	v_add_f64 v[58:59], v[0:1], v[58:59]
	v_add_f64 v[102:103], v[0:1], v[102:103]
	v_add_f64 v[68:69], v[0:1], v[68:69]
	v_add_f64 v[104:105], v[0:1], v[104:105]
	v_fma_f64 v[114:115], v[62:63], s[18:19], v[76:77]
	v_fma_f64 v[76:77], v[62:63], s[18:19], -v[76:77]
	v_fma_f64 v[122:123], v[62:63], s[14:15], v[60:61]
	v_fma_f64 v[60:61], v[62:63], s[14:15], -v[60:61]
	v_add_f64 v[62:63], v[0:1], v[96:97]
	v_add_f64 v[106:107], v[2:3], v[106:107]
	;; [unrolled: 1-line block ×12, first 2 shown]
	v_mul_f64 v[60:61], v[66:67], s[24:25]
	s_delay_alu instid0(VALU_DEP_1) | instskip(SKIP_1) | instid1(VALU_DEP_2)
	v_fma_f64 v[70:71], v[78:79], s[8:9], -v[60:61]
	v_fma_f64 v[60:61], v[78:79], s[8:9], v[60:61]
	v_add_f64 v[62:63], v[70:71], v[62:63]
	v_mul_f64 v[70:71], v[64:65], s[24:25]
	s_delay_alu instid0(VALU_DEP_3) | instskip(NEXT) | instid1(VALU_DEP_2)
	v_add_f64 v[42:43], v[60:61], v[42:43]
	v_fma_f64 v[122:123], v[84:85], s[8:9], v[70:71]
	v_fma_f64 v[60:61], v[84:85], s[8:9], -v[70:71]
	s_delay_alu instid0(VALU_DEP_2) | instskip(SKIP_1) | instid1(VALU_DEP_3)
	v_add_f64 v[96:97], v[122:123], v[96:97]
	v_mul_f64 v[122:123], v[74:75], s[26:27]
	v_add_f64 v[60:61], v[60:61], v[76:77]
	v_mul_f64 v[76:77], v[74:75], s[36:37]
	s_delay_alu instid0(VALU_DEP_3) | instskip(SKIP_1) | instid1(VALU_DEP_2)
	v_fma_f64 v[124:125], v[86:87], s[22:23], -v[122:123]
	v_fma_f64 v[70:71], v[86:87], s[22:23], v[122:123]
	v_add_f64 v[62:63], v[124:125], v[62:63]
	v_mul_f64 v[124:125], v[72:73], s[26:27]
	s_delay_alu instid0(VALU_DEP_3) | instskip(NEXT) | instid1(VALU_DEP_2)
	v_add_f64 v[42:43], v[70:71], v[42:43]
	v_fma_f64 v[126:127], v[88:89], s[22:23], v[124:125]
	v_fma_f64 v[70:71], v[88:89], s[22:23], -v[124:125]
	s_delay_alu instid0(VALU_DEP_2) | instskip(SKIP_1) | instid1(VALU_DEP_3)
	v_add_f64 v[96:97], v[126:127], v[96:97]
	v_mul_f64 v[126:127], v[82:83], s[28:29]
	v_add_f64 v[60:61], v[70:71], v[60:61]
	s_delay_alu instid0(VALU_DEP_2) | instskip(SKIP_2) | instid1(VALU_DEP_3)
	v_fma_f64 v[128:129], v[90:91], s[12:13], -v[126:127]
	v_fma_f64 v[70:71], v[90:91], s[12:13], v[126:127]
	v_add_f64 v[126:127], v[32:33], -v[4:5]
	v_add_f64 v[62:63], v[128:129], v[62:63]
	v_mul_f64 v[128:129], v[80:81], s[28:29]
	s_delay_alu instid0(VALU_DEP_4) | instskip(NEXT) | instid1(VALU_DEP_2)
	v_add_f64 v[42:43], v[70:71], v[42:43]
	v_fma_f64 v[130:131], v[94:95], s[12:13], v[128:129]
	v_fma_f64 v[70:71], v[94:95], s[12:13], -v[128:129]
	v_mul_f64 v[128:129], v[126:127], s[20:21]
	s_delay_alu instid0(VALU_DEP_3) | instskip(SKIP_1) | instid1(VALU_DEP_4)
	v_add_f64 v[96:97], v[130:131], v[96:97]
	v_mul_f64 v[130:131], v[40:41], s[16:17]
	v_add_f64 v[60:61], v[70:71], v[60:61]
	s_delay_alu instid0(VALU_DEP_2) | instskip(SKIP_1) | instid1(VALU_DEP_2)
	v_fma_f64 v[132:133], v[36:37], s[14:15], -v[130:131]
	v_fma_f64 v[70:71], v[36:37], s[14:15], v[130:131]
	v_add_f64 v[140:141], v[132:133], v[62:63]
	v_mul_f64 v[62:63], v[38:39], s[16:17]
	s_delay_alu instid0(VALU_DEP_3) | instskip(SKIP_1) | instid1(VALU_DEP_3)
	v_add_f64 v[144:145], v[70:71], v[42:43]
	v_mul_f64 v[42:43], v[66:67], s[28:29]
	v_fma_f64 v[132:133], v[92:93], s[14:15], v[62:63]
	v_fma_f64 v[62:63], v[92:93], s[14:15], -v[62:63]
	s_delay_alu instid0(VALU_DEP_2) | instskip(NEXT) | instid1(VALU_DEP_2)
	v_add_f64 v[142:143], v[132:133], v[96:97]
	v_add_f64 v[146:147], v[62:63], v[60:61]
	v_fma_f64 v[60:61], v[78:79], s[12:13], -v[42:43]
	v_mul_f64 v[62:63], v[64:65], s[28:29]
	v_fma_f64 v[96:97], v[86:87], s[14:15], -v[76:77]
	v_fma_f64 v[42:43], v[78:79], s[12:13], v[42:43]
	v_mul_f64 v[132:133], v[126:127], s[24:25]
	v_add_f64 v[60:61], v[60:61], v[98:99]
	v_fma_f64 v[70:71], v[84:85], s[12:13], v[62:63]
	s_delay_alu instid0(VALU_DEP_4)
	v_add_f64 v[42:43], v[42:43], v[56:57]
	v_fma_f64 v[56:57], v[84:85], s[12:13], -v[62:63]
	v_fma_f64 v[62:63], v[86:87], s[14:15], v[76:77]
	v_add_f64 v[60:61], v[96:97], v[60:61]
	v_mul_f64 v[96:97], v[72:73], s[36:37]
	v_add_f64 v[70:71], v[70:71], v[114:115]
	v_add_f64 v[56:57], v[56:57], v[106:107]
	;; [unrolled: 1-line block ×3, first 2 shown]
	s_delay_alu instid0(VALU_DEP_4) | instskip(SKIP_1) | instid1(VALU_DEP_2)
	v_fma_f64 v[98:99], v[88:89], s[14:15], v[96:97]
	v_fma_f64 v[62:63], v[88:89], s[14:15], -v[96:97]
	v_add_f64 v[70:71], v[98:99], v[70:71]
	v_mul_f64 v[98:99], v[82:83], s[34:35]
	s_delay_alu instid0(VALU_DEP_3) | instskip(NEXT) | instid1(VALU_DEP_2)
	v_add_f64 v[56:57], v[62:63], v[56:57]
	v_fma_f64 v[114:115], v[90:91], s[22:23], -v[98:99]
	v_fma_f64 v[62:63], v[90:91], s[22:23], v[98:99]
	s_delay_alu instid0(VALU_DEP_2) | instskip(SKIP_1) | instid1(VALU_DEP_3)
	v_add_f64 v[60:61], v[114:115], v[60:61]
	v_mul_f64 v[114:115], v[80:81], s[34:35]
	v_add_f64 v[42:43], v[62:63], v[42:43]
	s_delay_alu instid0(VALU_DEP_2) | instskip(SKIP_2) | instid1(VALU_DEP_3)
	v_fma_f64 v[122:123], v[94:95], s[22:23], v[114:115]
	v_fma_f64 v[62:63], v[94:95], s[22:23], -v[114:115]
	v_add_f64 v[114:115], v[32:33], v[4:5]
	v_add_f64 v[70:71], v[122:123], v[70:71]
	v_mul_f64 v[122:123], v[40:41], s[38:39]
	s_delay_alu instid0(VALU_DEP_4) | instskip(NEXT) | instid1(VALU_DEP_2)
	v_add_f64 v[56:57], v[62:63], v[56:57]
	v_fma_f64 v[124:125], v[36:37], s[18:19], -v[122:123]
	v_fma_f64 v[62:63], v[36:37], s[18:19], v[122:123]
	v_add_f64 v[122:123], v[34:35], -v[6:7]
	s_delay_alu instid0(VALU_DEP_3) | instskip(SKIP_1) | instid1(VALU_DEP_4)
	v_add_f64 v[148:149], v[124:125], v[60:61]
	v_mul_f64 v[60:61], v[38:39], s[38:39]
	v_add_f64 v[152:153], v[62:63], v[42:43]
	v_mul_f64 v[42:43], v[66:67], s[36:37]
	v_mul_f64 v[130:131], v[122:123], s[24:25]
	s_delay_alu instid0(VALU_DEP_4) | instskip(SKIP_1) | instid1(VALU_DEP_2)
	v_fma_f64 v[124:125], v[92:93], s[18:19], v[60:61]
	v_fma_f64 v[60:61], v[92:93], s[18:19], -v[60:61]
	v_add_f64 v[150:151], v[124:125], v[70:71]
	s_delay_alu instid0(VALU_DEP_2)
	v_add_f64 v[154:155], v[60:61], v[56:57]
	v_fma_f64 v[56:57], v[78:79], s[14:15], -v[42:43]
	v_mul_f64 v[70:71], v[74:75], s[30:31]
	v_mul_f64 v[60:61], v[64:65], s[36:37]
	v_fma_f64 v[42:43], v[78:79], s[14:15], v[42:43]
	v_add_f64 v[124:125], v[34:35], v[6:7]
	v_add_f64 v[56:57], v[56:57], v[100:101]
	v_fma_f64 v[76:77], v[86:87], s[8:9], -v[70:71]
	v_fma_f64 v[62:63], v[84:85], s[14:15], v[60:61]
	v_add_f64 v[42:43], v[42:43], v[58:59]
	v_fma_f64 v[58:59], v[84:85], s[14:15], -v[60:61]
	v_fma_f64 v[60:61], v[86:87], s[8:9], v[70:71]
	v_add_f64 v[56:57], v[76:77], v[56:57]
	v_mul_f64 v[76:77], v[72:73], s[30:31]
	v_add_f64 v[62:63], v[62:63], v[116:117]
	v_add_f64 v[58:59], v[58:59], v[108:109]
	;; [unrolled: 1-line block ×3, first 2 shown]
	v_mul_f64 v[116:117], v[122:123], s[20:21]
	v_fma_f64 v[96:97], v[88:89], s[8:9], v[76:77]
	v_fma_f64 v[60:61], v[88:89], s[8:9], -v[76:77]
	s_delay_alu instid0(VALU_DEP_2) | instskip(SKIP_1) | instid1(VALU_DEP_3)
	v_add_f64 v[62:63], v[96:97], v[62:63]
	v_mul_f64 v[96:97], v[82:83], s[20:21]
	v_add_f64 v[58:59], v[60:61], v[58:59]
	s_delay_alu instid0(VALU_DEP_2) | instskip(SKIP_1) | instid1(VALU_DEP_2)
	v_fma_f64 v[98:99], v[90:91], s[18:19], -v[96:97]
	v_fma_f64 v[60:61], v[90:91], s[18:19], v[96:97]
	v_add_f64 v[56:57], v[98:99], v[56:57]
	v_mul_f64 v[98:99], v[80:81], s[20:21]
	s_delay_alu instid0(VALU_DEP_3) | instskip(NEXT) | instid1(VALU_DEP_2)
	v_add_f64 v[42:43], v[60:61], v[42:43]
	v_fma_f64 v[100:101], v[94:95], s[18:19], v[98:99]
	v_fma_f64 v[60:61], v[94:95], s[18:19], -v[98:99]
	s_delay_alu instid0(VALU_DEP_2) | instskip(SKIP_1) | instid1(VALU_DEP_3)
	v_add_f64 v[62:63], v[100:101], v[62:63]
	v_mul_f64 v[100:101], v[40:41], s[28:29]
	v_add_f64 v[58:59], v[60:61], v[58:59]
	s_delay_alu instid0(VALU_DEP_2) | instskip(SKIP_1) | instid1(VALU_DEP_2)
	v_fma_f64 v[106:107], v[36:37], s[12:13], -v[100:101]
	v_fma_f64 v[60:61], v[36:37], s[12:13], v[100:101]
	v_add_f64 v[156:157], v[106:107], v[56:57]
	v_mul_f64 v[56:57], v[38:39], s[28:29]
	s_delay_alu instid0(VALU_DEP_3) | instskip(SKIP_1) | instid1(VALU_DEP_3)
	v_add_f64 v[160:161], v[60:61], v[42:43]
	v_mul_f64 v[42:43], v[66:67], s[34:35]
	v_fma_f64 v[106:107], v[92:93], s[12:13], v[56:57]
	v_fma_f64 v[56:57], v[92:93], s[12:13], -v[56:57]
	s_delay_alu instid0(VALU_DEP_2) | instskip(NEXT) | instid1(VALU_DEP_2)
	v_add_f64 v[158:159], v[106:107], v[62:63]
	v_add_f64 v[162:163], v[56:57], v[58:59]
	v_fma_f64 v[56:57], v[78:79], s[22:23], -v[42:43]
	v_mul_f64 v[62:63], v[74:75], s[20:21]
	v_mul_f64 v[58:59], v[64:65], s[34:35]
	;; [unrolled: 1-line block ×4, first 2 shown]
	v_add_f64 v[56:57], v[56:57], v[102:103]
	v_fma_f64 v[70:71], v[86:87], s[18:19], -v[62:63]
	v_fma_f64 v[60:61], v[84:85], s[22:23], v[58:59]
	s_delay_alu instid0(VALU_DEP_4) | instskip(NEXT) | instid1(VALU_DEP_3)
	v_fma_f64 v[102:103], v[86:87], s[12:13], -v[74:75]
	v_add_f64 v[56:57], v[70:71], v[56:57]
	v_mul_f64 v[70:71], v[72:73], s[20:21]
	s_delay_alu instid0(VALU_DEP_4) | instskip(SKIP_1) | instid1(VALU_DEP_3)
	v_add_f64 v[60:61], v[60:61], v[118:119]
	v_mul_f64 v[72:73], v[72:73], s[28:29]
	v_fma_f64 v[76:77], v[88:89], s[18:19], v[70:71]
	s_delay_alu instid0(VALU_DEP_1) | instskip(SKIP_2) | instid1(VALU_DEP_2)
	v_add_f64 v[60:61], v[76:77], v[60:61]
	v_mul_f64 v[76:77], v[82:83], s[16:17]
	v_mul_f64 v[82:83], v[82:83], s[30:31]
	v_fma_f64 v[96:97], v[90:91], s[14:15], -v[76:77]
	s_delay_alu instid0(VALU_DEP_1) | instskip(SKIP_2) | instid1(VALU_DEP_2)
	v_add_f64 v[56:57], v[96:97], v[56:57]
	v_mul_f64 v[96:97], v[80:81], s[16:17]
	v_mul_f64 v[80:81], v[80:81], s[30:31]
	v_fma_f64 v[98:99], v[94:95], s[14:15], v[96:97]
	s_delay_alu instid0(VALU_DEP_1) | instskip(SKIP_2) | instid1(VALU_DEP_2)
	v_add_f64 v[60:61], v[98:99], v[60:61]
	v_mul_f64 v[98:99], v[40:41], s[30:31]
	v_mul_f64 v[40:41], v[40:41], s[26:27]
	v_fma_f64 v[100:101], v[36:37], s[8:9], -v[98:99]
	s_delay_alu instid0(VALU_DEP_1) | instskip(SKIP_2) | instid1(VALU_DEP_2)
	v_add_f64 v[164:165], v[100:101], v[56:57]
	v_mul_f64 v[56:57], v[38:39], s[30:31]
	v_mul_f64 v[38:39], v[38:39], s[26:27]
	v_fma_f64 v[100:101], v[92:93], s[8:9], v[56:57]
	s_delay_alu instid0(VALU_DEP_1) | instskip(SKIP_2) | instid1(VALU_DEP_2)
	v_add_f64 v[166:167], v[100:101], v[60:61]
	v_mul_f64 v[60:61], v[66:67], s[38:39]
	v_fma_f64 v[100:101], v[84:85], s[18:19], v[64:65]
	v_fma_f64 v[66:67], v[78:79], s[18:19], -v[60:61]
	v_fma_f64 v[60:61], v[78:79], s[18:19], v[60:61]
	s_delay_alu instid0(VALU_DEP_3) | instskip(NEXT) | instid1(VALU_DEP_3)
	v_add_f64 v[100:101], v[100:101], v[120:121]
	v_add_f64 v[66:67], v[66:67], v[104:105]
	s_delay_alu instid0(VALU_DEP_3) | instskip(SKIP_2) | instid1(VALU_DEP_4)
	v_add_f64 v[0:1], v[60:61], v[0:1]
	v_fma_f64 v[60:61], v[84:85], s[18:19], -v[64:65]
	v_add_f64 v[64:65], v[48:49], v[20:21]
	v_add_f64 v[66:67], v[102:103], v[66:67]
	v_fma_f64 v[102:103], v[88:89], s[12:13], v[72:73]
	s_delay_alu instid0(VALU_DEP_4) | instskip(SKIP_1) | instid1(VALU_DEP_3)
	v_add_f64 v[2:3], v[60:61], v[2:3]
	v_fma_f64 v[60:61], v[86:87], s[12:13], v[74:75]
	v_add_f64 v[100:101], v[102:103], v[100:101]
	v_fma_f64 v[102:103], v[90:91], s[8:9], -v[82:83]
	s_delay_alu instid0(VALU_DEP_3) | instskip(SKIP_1) | instid1(VALU_DEP_3)
	v_add_f64 v[0:1], v[60:61], v[0:1]
	v_fma_f64 v[60:61], v[88:89], s[12:13], -v[72:73]
	v_add_f64 v[66:67], v[102:103], v[66:67]
	v_fma_f64 v[102:103], v[94:95], s[8:9], v[80:81]
	s_delay_alu instid0(VALU_DEP_3) | instskip(SKIP_1) | instid1(VALU_DEP_3)
	v_add_f64 v[2:3], v[60:61], v[2:3]
	v_fma_f64 v[60:61], v[90:91], s[8:9], v[82:83]
	v_add_f64 v[100:101], v[102:103], v[100:101]
	v_fma_f64 v[102:103], v[36:37], s[22:23], -v[40:41]
	s_delay_alu instid0(VALU_DEP_3)
	v_add_f64 v[0:1], v[60:61], v[0:1]
	v_fma_f64 v[60:61], v[94:95], s[8:9], -v[80:81]
	v_fma_f64 v[40:41], v[36:37], s[22:23], v[40:41]
	v_fma_f64 v[36:37], v[36:37], s[8:9], v[98:99]
	v_add_f64 v[80:81], v[54:55], v[18:19]
	v_add_f64 v[168:169], v[102:103], v[66:67]
	v_fma_f64 v[66:67], v[92:93], s[22:23], v[38:39]
	v_add_f64 v[2:3], v[60:61], v[2:3]
	v_fma_f64 v[38:39], v[92:93], s[22:23], -v[38:39]
	v_add_f64 v[172:173], v[40:41], v[0:1]
	v_fma_f64 v[0:1], v[78:79], s[22:23], v[42:43]
	v_fma_f64 v[40:41], v[88:89], s[18:19], -v[70:71]
	v_fma_f64 v[42:43], v[90:91], s[14:15], v[76:77]
	v_add_f64 v[88:89], v[44:45], -v[12:13]
	v_add_f64 v[76:77], v[46:47], v[14:15]
	v_add_f64 v[60:61], v[52:53], v[16:17]
	v_add_f64 v[90:91], v[52:53], -v[16:17]
	v_add_f64 v[70:71], v[50:51], -v[22:23]
	v_add_f64 v[170:171], v[66:67], v[100:101]
	v_add_f64 v[174:175], v[38:39], v[2:3]
	v_fma_f64 v[2:3], v[84:85], s[22:23], -v[58:59]
	v_fma_f64 v[38:39], v[86:87], s[18:19], v[62:63]
	v_add_f64 v[0:1], v[0:1], v[68:69]
	v_fma_f64 v[58:59], v[94:95], s[14:15], -v[96:97]
	v_mul_f64 v[78:79], v[88:89], s[24:25]
	v_add_f64 v[68:69], v[54:55], -v[18:19]
	v_add_f64 v[84:85], v[50:51], v[22:23]
	v_mul_f64 v[82:83], v[90:91], s[26:27]
	v_mul_f64 v[66:67], v[70:71], s[28:29]
	v_add_f64 v[94:95], v[28:29], -v[24:25]
	v_mul_f64 v[104:105], v[88:89], s[28:29]
	v_mul_f64 v[106:107], v[90:91], s[36:37]
	;; [unrolled: 1-line block ×3, first 2 shown]
	v_add_f64 v[2:3], v[2:3], v[110:111]
	v_add_f64 v[0:1], v[38:39], v[0:1]
	v_fma_f64 v[38:39], v[92:93], s[8:9], -v[56:57]
	v_add_f64 v[92:93], v[48:49], -v[20:21]
	v_mul_f64 v[62:63], v[68:69], s[26:27]
	v_mul_f64 v[74:75], v[94:95], s[16:17]
	v_fma_f64 v[98:99], v[76:77], s[12:13], -v[104:105]
	v_add_f64 v[2:3], v[40:41], v[2:3]
	v_add_f64 v[40:41], v[30:31], -v[26:27]
	v_add_f64 v[0:1], v[42:43], v[0:1]
	v_add_f64 v[42:43], v[44:45], v[12:13]
	v_mul_f64 v[86:87], v[92:93], s[28:29]
	v_mul_f64 v[118:119], v[92:93], s[34:35]
	v_add_f64 v[2:3], v[58:59], v[2:3]
	v_add_f64 v[58:59], v[46:47], -v[14:15]
	v_add_f64 v[176:177], v[36:37], v[0:1]
	v_fma_f64 v[0:1], v[114:115], s[18:19], v[116:117]
	v_fma_f64 v[36:37], v[76:77], s[8:9], -v[78:79]
	v_add_f64 v[178:179], v[38:39], v[2:3]
	v_mul_f64 v[56:57], v[58:59], s[24:25]
	v_mul_f64 v[38:39], v[40:41], s[16:17]
	v_add_f64 v[0:1], v[8:9], v[0:1]
	v_mul_f64 v[96:97], v[58:59], s[28:29]
	ds_store_b128 v135, v[136:139]
	ds_store_b128 v135, v[140:143] offset:16
	ds_store_b128 v135, v[148:151] offset:32
	;; [unrolled: 1-line block ×10, first 2 shown]
	v_add_co_ci_u32_e64 v136, null, 0, 0, s0
	v_mul_u32_u24_e32 v136, 11, v196
	v_fma_f64 v[2:3], v[42:43], s[8:9], v[56:57]
	scratch_store_b32 off, v136, off offset:636 ; 4-byte Folded Spill
	v_add_f64 v[0:1], v[2:3], v[0:1]
	v_fma_f64 v[2:3], v[124:125], s[18:19], -v[128:129]
	s_delay_alu instid0(VALU_DEP_1) | instskip(NEXT) | instid1(VALU_DEP_1)
	v_add_f64 v[2:3], v[10:11], v[2:3]
	v_add_f64 v[2:3], v[36:37], v[2:3]
	v_fma_f64 v[36:37], v[60:61], s[22:23], v[62:63]
	s_delay_alu instid0(VALU_DEP_1) | instskip(SKIP_1) | instid1(VALU_DEP_1)
	v_add_f64 v[0:1], v[36:37], v[0:1]
	v_fma_f64 v[36:37], v[80:81], s[22:23], -v[82:83]
	v_add_f64 v[2:3], v[36:37], v[2:3]
	v_fma_f64 v[36:37], v[64:65], s[12:13], v[66:67]
	s_delay_alu instid0(VALU_DEP_1) | instskip(SKIP_1) | instid1(VALU_DEP_1)
	v_add_f64 v[0:1], v[36:37], v[0:1]
	v_fma_f64 v[36:37], v[84:85], s[12:13], -v[86:87]
	v_add_f64 v[2:3], v[36:37], v[2:3]
	v_add_f64 v[36:37], v[28:29], v[24:25]
	s_delay_alu instid0(VALU_DEP_1) | instskip(NEXT) | instid1(VALU_DEP_1)
	v_fma_f64 v[72:73], v[36:37], s[14:15], v[38:39]
	v_add_f64 v[108:109], v[72:73], v[0:1]
	v_add_f64 v[72:73], v[30:31], v[26:27]
	s_delay_alu instid0(VALU_DEP_1) | instskip(NEXT) | instid1(VALU_DEP_1)
	v_fma_f64 v[0:1], v[72:73], s[14:15], -v[74:75]
	v_add_f64 v[110:111], v[0:1], v[2:3]
	v_fma_f64 v[0:1], v[114:115], s[8:9], v[130:131]
	v_fma_f64 v[2:3], v[42:43], s[12:13], v[96:97]
	s_delay_alu instid0(VALU_DEP_2) | instskip(NEXT) | instid1(VALU_DEP_1)
	v_add_f64 v[0:1], v[8:9], v[0:1]
	v_add_f64 v[0:1], v[2:3], v[0:1]
	v_fma_f64 v[2:3], v[124:125], s[8:9], -v[132:133]
	s_delay_alu instid0(VALU_DEP_1) | instskip(NEXT) | instid1(VALU_DEP_1)
	v_add_f64 v[2:3], v[10:11], v[2:3]
	v_add_f64 v[2:3], v[98:99], v[2:3]
	v_mul_f64 v[98:99], v[68:69], s[36:37]
	s_delay_alu instid0(VALU_DEP_1) | instskip(NEXT) | instid1(VALU_DEP_1)
	v_fma_f64 v[100:101], v[60:61], s[14:15], v[98:99]
	v_add_f64 v[0:1], v[100:101], v[0:1]
	v_fma_f64 v[100:101], v[80:81], s[14:15], -v[106:107]
	s_delay_alu instid0(VALU_DEP_1) | instskip(SKIP_1) | instid1(VALU_DEP_1)
	v_add_f64 v[2:3], v[100:101], v[2:3]
	v_fma_f64 v[100:101], v[64:65], s[22:23], v[102:103]
	v_add_f64 v[0:1], v[100:101], v[0:1]
	v_fma_f64 v[100:101], v[84:85], s[22:23], -v[118:119]
	s_delay_alu instid0(VALU_DEP_1) | instskip(SKIP_1) | instid1(VALU_DEP_1)
	v_add_f64 v[2:3], v[100:101], v[2:3]
	v_mul_f64 v[100:101], v[40:41], s[38:39]
	v_fma_f64 v[120:121], v[36:37], s[18:19], v[100:101]
	s_delay_alu instid0(VALU_DEP_1) | instskip(SKIP_1) | instid1(VALU_DEP_1)
	v_add_f64 v[0:1], v[120:121], v[0:1]
	v_mul_f64 v[120:121], v[94:95], s[38:39]
	v_fma_f64 v[180:181], v[72:73], s[18:19], -v[120:121]
	s_delay_alu instid0(VALU_DEP_1)
	v_add_f64 v[2:3], v[180:181], v[2:3]
	s_and_saveexec_b32 s33, vcc_lo
	s_cbranch_execz .LBB0_7
; %bb.6:
	v_add_f64 v[34:35], v[10:11], v[34:35]
	v_add_f64 v[32:33], v[8:9], v[32:33]
	s_mov_b32 s1, 0x3fe82f19
	s_mov_b32 s0, s28
	v_mul_f64 v[138:139], v[72:73], s[22:23]
	v_mul_f64 v[140:141], v[40:41], s[26:27]
	s_delay_alu instid0(VALU_DEP_4) | instskip(NEXT) | instid1(VALU_DEP_4)
	v_add_f64 v[34:35], v[34:35], v[46:47]
	v_add_f64 v[32:33], v[32:33], v[44:45]
	v_mul_f64 v[44:45], v[124:125], s[12:13]
	s_delay_alu instid0(VALU_DEP_3) | instskip(NEXT) | instid1(VALU_DEP_3)
	v_add_f64 v[34:35], v[34:35], v[54:55]
	v_add_f64 v[32:33], v[32:33], v[52:53]
	v_mul_f64 v[52:53], v[124:125], s[18:19]
	v_mul_f64 v[54:55], v[122:123], s[16:17]
	v_fma_f64 v[46:47], v[126:127], s[0:1], v[44:45]
	v_fma_f64 v[44:45], v[126:127], s[28:29], v[44:45]
	v_add_f64 v[34:35], v[34:35], v[50:51]
	v_add_f64 v[32:33], v[32:33], v[48:49]
	v_mul_f64 v[48:49], v[124:125], s[22:23]
	v_add_f64 v[52:53], v[128:129], v[52:53]
	v_add_f64 v[46:47], v[10:11], v[46:47]
	;; [unrolled: 1-line block ×5, first 2 shown]
	v_mul_f64 v[32:33], v[124:125], s[14:15]
	v_fma_f64 v[50:51], v[126:127], s[26:27], v[48:49]
	v_fma_f64 v[48:49], v[126:127], s[34:35], v[48:49]
	v_add_f64 v[52:53], v[10:11], v[52:53]
	v_add_f64 v[26:27], v[30:31], v[26:27]
	;; [unrolled: 1-line block ×3, first 2 shown]
	v_mul_f64 v[28:29], v[124:125], s[8:9]
	v_mul_f64 v[30:31], v[114:115], s[8:9]
	v_mul_f64 v[124:125], v[122:123], s[28:29]
	v_mul_f64 v[122:123], v[122:123], s[26:27]
	v_fma_f64 v[34:35], v[126:127], s[36:37], v[32:33]
	v_fma_f64 v[32:33], v[126:127], s[16:17], v[32:33]
	;; [unrolled: 1-line block ×3, first 2 shown]
	v_fma_f64 v[54:55], v[114:115], s[14:15], -v[54:55]
	v_add_f64 v[50:51], v[10:11], v[50:51]
	v_add_f64 v[48:49], v[10:11], v[48:49]
	;; [unrolled: 1-line block ×3, first 2 shown]
	v_add_f64 v[30:31], v[30:31], -v[130:131]
	v_fma_f64 v[128:129], v[114:115], s[12:13], -v[124:125]
	v_fma_f64 v[124:125], v[114:115], s[12:13], v[124:125]
	v_fma_f64 v[130:131], v[114:115], s[22:23], -v[122:123]
	v_fma_f64 v[122:123], v[114:115], s[22:23], v[122:123]
	v_mul_f64 v[114:115], v[114:115], s[18:19]
	v_add_f64 v[132:133], v[24:25], v[20:21]
	v_mul_f64 v[20:21], v[76:77], s[18:19]
	v_add_f64 v[34:35], v[10:11], v[34:35]
	v_add_f64 v[54:55], v[8:9], v[54:55]
	v_mul_f64 v[24:25], v[80:81], s[12:13]
	v_add_f64 v[32:33], v[10:11], v[32:33]
	v_add_f64 v[28:29], v[10:11], v[28:29]
	v_add_f64 v[30:31], v[8:9], v[30:31]
	v_add_f64 v[128:129], v[8:9], v[128:129]
	v_add_f64 v[124:125], v[8:9], v[124:125]
	v_add_f64 v[122:123], v[8:9], v[122:123]
	v_add_f64 v[114:115], v[114:115], -v[116:117]
	v_add_f64 v[116:117], v[8:9], v[126:127]
	v_add_f64 v[126:127], v[8:9], v[130:131]
	;; [unrolled: 1-line block ×3, first 2 shown]
	v_mul_f64 v[22:23], v[58:59], s[38:39]
	v_fma_f64 v[26:27], v[90:91], s[0:1], v[24:25]
	v_fma_f64 v[24:25], v[90:91], s[28:29], v[24:25]
	v_add_f64 v[114:115], v[8:9], v[114:115]
	v_fma_f64 v[8:9], v[88:89], s[20:21], v[20:21]
	v_fma_f64 v[20:21], v[88:89], s[38:39], v[20:21]
	;; [unrolled: 1-line block ×3, first 2 shown]
	v_fma_f64 v[22:23], v[42:43], s[18:19], -v[22:23]
	s_delay_alu instid0(VALU_DEP_4) | instskip(NEXT) | instid1(VALU_DEP_4)
	v_add_f64 v[8:9], v[8:9], v[34:35]
	v_add_f64 v[20:21], v[20:21], v[32:33]
	v_mul_f64 v[32:33], v[80:81], s[14:15]
	v_add_f64 v[10:11], v[10:11], v[116:117]
	v_add_f64 v[22:23], v[22:23], v[54:55]
	v_mul_f64 v[54:55], v[84:85], s[22:23]
	v_add_f64 v[8:9], v[26:27], v[8:9]
	v_mul_f64 v[26:27], v[68:69], s[28:29]
	v_add_f64 v[20:21], v[24:25], v[20:21]
	v_add_f64 v[32:33], v[106:107], v[32:33]
	;; [unrolled: 1-line block ×3, first 2 shown]
	s_delay_alu instid0(VALU_DEP_4) | instskip(SKIP_2) | instid1(VALU_DEP_3)
	v_fma_f64 v[34:35], v[60:61], s[12:13], v[26:27]
	v_fma_f64 v[24:25], v[60:61], s[12:13], -v[26:27]
	v_fma_f64 v[26:27], v[36:37], s[22:23], -v[140:141]
	v_add_f64 v[10:11], v[34:35], v[10:11]
	v_mul_f64 v[34:35], v[84:85], s[8:9]
	s_delay_alu instid0(VALU_DEP_4) | instskip(NEXT) | instid1(VALU_DEP_2)
	v_add_f64 v[22:23], v[24:25], v[22:23]
	v_fma_f64 v[116:117], v[92:93], s[24:25], v[34:35]
	v_fma_f64 v[24:25], v[92:93], s[30:31], v[34:35]
	v_mul_f64 v[34:35], v[60:61], s[14:15]
	s_delay_alu instid0(VALU_DEP_3) | instskip(SKIP_1) | instid1(VALU_DEP_4)
	v_add_f64 v[8:9], v[116:117], v[8:9]
	v_mul_f64 v[116:117], v[70:71], s[30:31]
	v_add_f64 v[20:21], v[24:25], v[20:21]
	s_delay_alu instid0(VALU_DEP_4) | instskip(NEXT) | instid1(VALU_DEP_3)
	v_add_f64 v[34:35], v[34:35], -v[98:99]
	v_fma_f64 v[24:25], v[64:65], s[8:9], -v[116:117]
	v_fma_f64 v[136:137], v[64:65], s[8:9], v[116:117]
	s_delay_alu instid0(VALU_DEP_2) | instskip(SKIP_1) | instid1(VALU_DEP_3)
	v_add_f64 v[24:25], v[24:25], v[22:23]
	v_fma_f64 v[22:23], v[94:95], s[26:27], v[138:139]
	v_add_f64 v[136:137], v[136:137], v[10:11]
	v_fma_f64 v[10:11], v[94:95], s[34:35], v[138:139]
	s_delay_alu instid0(VALU_DEP_3)
	v_add_f64 v[22:23], v[22:23], v[20:21]
	v_add_f64 v[20:21], v[26:27], v[24:25]
	v_mul_f64 v[24:25], v[76:77], s[12:13]
	v_mul_f64 v[26:27], v[42:43], s[12:13]
	v_add_f64 v[10:11], v[10:11], v[8:9]
	v_fma_f64 v[8:9], v[36:37], s[22:23], v[140:141]
	s_delay_alu instid0(VALU_DEP_4) | instskip(NEXT) | instid1(VALU_DEP_4)
	v_add_f64 v[24:25], v[104:105], v[24:25]
	v_add_f64 v[26:27], v[26:27], -v[96:97]
	v_mul_f64 v[96:97], v[64:65], s[22:23]
	v_mul_f64 v[104:105], v[40:41], s[28:29]
	;; [unrolled: 1-line block ×3, first 2 shown]
	v_add_f64 v[8:9], v[8:9], v[136:137]
	v_add_f64 v[24:25], v[24:25], v[28:29]
	;; [unrolled: 1-line block ×3, first 2 shown]
	v_add_f64 v[96:97], v[96:97], -v[102:103]
	v_mul_f64 v[28:29], v[72:73], s[18:19]
	v_mul_f64 v[30:31], v[36:37], s[18:19]
	;; [unrolled: 1-line block ×3, first 2 shown]
	v_add_f64 v[24:25], v[32:33], v[24:25]
	v_add_f64 v[26:27], v[34:35], v[26:27]
	v_mul_f64 v[34:35], v[58:59], s[36:37]
	v_add_f64 v[28:29], v[120:121], v[28:29]
	v_add_f64 v[30:31], v[30:31], -v[100:101]
	v_mul_f64 v[58:59], v[58:59], s[34:35]
	v_add_f64 v[24:25], v[54:55], v[24:25]
	v_add_f64 v[32:33], v[96:97], v[26:27]
	s_delay_alu instid0(VALU_DEP_2) | instskip(NEXT) | instid1(VALU_DEP_2)
	v_add_f64 v[26:27], v[28:29], v[24:25]
	v_add_f64 v[24:25], v[30:31], v[32:33]
	v_mul_f64 v[32:33], v[76:77], s[14:15]
	v_add_f64 v[30:31], v[132:133], v[16:17]
	v_add_f64 v[28:29], v[130:131], v[18:19]
	v_fma_f64 v[18:19], v[42:43], s[14:15], -v[34:35]
	v_fma_f64 v[34:35], v[42:43], s[14:15], v[34:35]
	v_fma_f64 v[16:17], v[88:89], s[36:37], v[32:33]
	v_add_f64 v[106:107], v[30:31], v[12:13]
	v_mul_f64 v[12:13], v[76:77], s[22:23]
	v_add_f64 v[18:19], v[18:19], v[126:127]
	v_mul_f64 v[76:77], v[76:77], s[8:9]
	v_mul_f64 v[30:31], v[80:81], s[18:19]
	v_add_f64 v[34:35], v[34:35], v[122:123]
	v_add_f64 v[16:17], v[16:17], v[50:51]
	v_mul_f64 v[50:51], v[80:81], s[8:9]
	v_add_f64 v[4:5], v[106:107], v[4:5]
	v_add_f64 v[76:77], v[78:79], v[76:77]
	v_fma_f64 v[78:79], v[42:43], s[22:23], -v[58:59]
	v_fma_f64 v[58:59], v[42:43], s[22:23], v[58:59]
	v_mul_f64 v[42:43], v[42:43], s[8:9]
	v_fma_f64 v[54:55], v[90:91], s[30:31], v[50:51]
	v_fma_f64 v[50:51], v[90:91], s[24:25], v[50:51]
	s_delay_alu instid0(VALU_DEP_3) | instskip(SKIP_1) | instid1(VALU_DEP_4)
	v_add_f64 v[42:43], v[42:43], -v[56:57]
	v_mul_f64 v[56:57], v[80:81], s[22:23]
	v_add_f64 v[16:17], v[54:55], v[16:17]
	v_mul_f64 v[54:55], v[68:69], s[30:31]
	v_mul_f64 v[68:69], v[68:69], s[20:21]
	v_add_f64 v[42:43], v[42:43], v[114:115]
	v_add_f64 v[56:57], v[82:83], v[56:57]
	s_delay_alu instid0(VALU_DEP_4) | instskip(NEXT) | instid1(VALU_DEP_4)
	v_fma_f64 v[96:97], v[60:61], s[8:9], -v[54:55]
	v_fma_f64 v[80:81], v[60:61], s[18:19], -v[68:69]
	v_fma_f64 v[68:69], v[60:61], s[18:19], v[68:69]
	v_fma_f64 v[54:55], v[60:61], s[8:9], v[54:55]
	v_mul_f64 v[60:61], v[60:61], s[22:23]
	v_add_f64 v[18:19], v[96:97], v[18:19]
	v_mul_f64 v[96:97], v[84:85], s[18:19]
	s_delay_alu instid0(VALU_DEP_4) | instskip(NEXT) | instid1(VALU_DEP_4)
	v_add_f64 v[34:35], v[54:55], v[34:35]
	v_add_f64 v[60:61], v[60:61], -v[62:63]
	v_mul_f64 v[62:63], v[84:85], s[12:13]
	s_delay_alu instid0(VALU_DEP_4) | instskip(NEXT) | instid1(VALU_DEP_3)
	v_fma_f64 v[98:99], v[92:93], s[20:21], v[96:97]
	v_add_f64 v[42:43], v[60:61], v[42:43]
	s_delay_alu instid0(VALU_DEP_3) | instskip(NEXT) | instid1(VALU_DEP_3)
	v_add_f64 v[62:63], v[86:87], v[62:63]
	v_add_f64 v[16:17], v[98:99], v[16:17]
	v_mul_f64 v[98:99], v[70:71], s[20:21]
	v_mul_f64 v[70:71], v[70:71], s[16:17]
	s_delay_alu instid0(VALU_DEP_2) | instskip(NEXT) | instid1(VALU_DEP_2)
	v_fma_f64 v[100:101], v[64:65], s[18:19], -v[98:99]
	v_fma_f64 v[82:83], v[64:65], s[14:15], -v[70:71]
	v_fma_f64 v[70:71], v[64:65], s[14:15], v[70:71]
	s_delay_alu instid0(VALU_DEP_3) | instskip(SKIP_1) | instid1(VALU_DEP_1)
	v_add_f64 v[100:101], v[100:101], v[18:19]
	v_fma_f64 v[18:19], v[94:95], s[28:29], v[102:103]
	v_add_f64 v[18:19], v[18:19], v[16:17]
	v_fma_f64 v[16:17], v[36:37], s[12:13], -v[104:105]
	s_delay_alu instid0(VALU_DEP_1)
	v_add_f64 v[16:17], v[16:17], v[100:101]
	v_add_f64 v[100:101], v[28:29], v[14:15]
	v_fma_f64 v[14:15], v[88:89], s[34:35], v[12:13]
	v_fma_f64 v[12:13], v[88:89], s[26:27], v[12:13]
	;; [unrolled: 1-line block ×4, first 2 shown]
	v_mul_f64 v[88:89], v[84:85], s[14:15]
	v_fma_f64 v[30:31], v[90:91], s[38:39], v[30:31]
	v_fma_f64 v[84:85], v[64:65], s[18:19], v[98:99]
	v_mul_f64 v[64:65], v[64:65], s[12:13]
	v_add_f64 v[6:7], v[100:101], v[6:7]
	v_add_f64 v[14:15], v[14:15], v[44:45]
	;; [unrolled: 1-line block ×7, first 2 shown]
	v_fma_f64 v[90:91], v[92:93], s[16:17], v[88:89]
	v_fma_f64 v[88:89], v[92:93], s[36:37], v[88:89]
	;; [unrolled: 1-line block ×3, first 2 shown]
	v_mul_f64 v[96:97], v[72:73], s[8:9]
	v_add_f64 v[64:65], v[64:65], -v[66:67]
	v_mul_f64 v[52:53], v[72:73], s[14:15]
	v_add_f64 v[14:15], v[32:33], v[14:15]
	v_add_f64 v[32:33], v[80:81], v[44:45]
	;; [unrolled: 1-line block ×4, first 2 shown]
	v_fma_f64 v[46:47], v[36:37], s[8:9], -v[40:41]
	v_add_f64 v[44:45], v[56:57], v[48:49]
	v_fma_f64 v[40:41], v[36:37], s[8:9], v[40:41]
	v_fma_f64 v[48:49], v[36:37], s[12:13], v[104:105]
	v_mul_f64 v[36:37], v[36:37], s[14:15]
	v_add_f64 v[28:29], v[50:51], v[28:29]
	v_fma_f64 v[116:117], v[94:95], s[30:31], v[96:97]
	v_fma_f64 v[96:97], v[94:95], s[24:25], v[96:97]
	;; [unrolled: 1-line block ×3, first 2 shown]
	v_add_f64 v[56:57], v[84:85], v[34:35]
	v_add_f64 v[52:53], v[74:75], v[52:53]
	v_add_f64 v[42:43], v[64:65], v[42:43]
	v_add_f64 v[14:15], v[90:91], v[14:15]
	v_add_f64 v[32:33], v[82:83], v[32:33]
	v_add_f64 v[50:51], v[70:71], v[30:31]
	v_add_f64 v[44:45], v[62:63], v[44:45]
	v_add_f64 v[36:37], v[36:37], -v[38:39]
	v_add_f64 v[38:39], v[88:89], v[12:13]
	v_add_f64 v[54:55], v[92:93], v[28:29]
	v_add_f64 v[14:15], v[116:117], v[14:15]
	v_add_f64 v[12:13], v[46:47], v[32:33]
	v_add_f64 v[32:33], v[48:49], v[56:57]
	v_add_f64 v[28:29], v[40:41], v[50:51]
	v_mul_u32_u24_e32 v40, 11, v196
	v_add_f64 v[36:37], v[36:37], v[42:43]
	v_add_f64 v[30:31], v[96:97], v[38:39]
	;; [unrolled: 1-line block ×4, first 2 shown]
	v_lshlrev_b32_e32 v40, 4, v40
	ds_store_b128 v40, v[24:27] offset:32
	ds_store_b128 v40, v[16:19] offset:48
	;; [unrolled: 1-line block ×9, first 2 shown]
	ds_store_b128 v40, v[4:7]
	ds_store_b128 v40, v[108:111] offset:160
.LBB0_7:
	s_or_b32 exec_lo, exec_lo, s33
	s_waitcnt lgkmcnt(0)
	s_waitcnt_vscnt null, 0x0
	s_barrier
	buffer_gl0_inv
	ds_load_b128 v[16:19], v134
	ds_load_b128 v[12:15], v134 offset:880
	ds_load_b128 v[104:107], v134 offset:3696
	;; [unrolled: 1-line block ×19, first 2 shown]
	v_cmp_gt_u16_e64 s0, 11, v231
                                        ; implicit-def: $vgpr40_vgpr41
                                        ; implicit-def: $vgpr36_vgpr37
                                        ; implicit-def: $vgpr44_vgpr45
	s_delay_alu instid0(VALU_DEP_1)
	s_and_saveexec_b32 s1, s0
	s_cbranch_execz .LBB0_9
; %bb.8:
	ds_load_b128 v[0:3], v134 offset:3520
	ds_load_b128 v[108:111], v134 offset:7216
	ds_load_b128 v[40:43], v134 offset:10912
	ds_load_b128 v[36:39], v134 offset:14608
	ds_load_b128 v[44:47], v134 offset:18304
.LBB0_9:
	s_or_b32 exec_lo, exec_lo, s1
	v_add_co_u32 v48, s1, 0xdc, v231
	s_delay_alu instid0(VALU_DEP_1) | instskip(SKIP_1) | instid1(VALU_DEP_2)
	v_add_co_ci_u32_e64 v49, null, 0, 0, s1
	s_mov_b32 s14, 0x134454ff
	v_and_b32_e32 v50, 0xffff, v48
	s_mov_b32 s15, 0x3fee6f0e
	s_mov_b32 s17, 0xbfee6f0e
	;; [unrolled: 1-line block ×4, first 2 shown]
	v_mul_u32_u24_e32 v50, 0xba2f, v50
	s_mov_b32 s9, 0x3fe2cf23
	s_mov_b32 s13, 0xbfe2cf23
	;; [unrolled: 1-line block ×4, first 2 shown]
	v_lshrrev_b32_e32 v50, 19, v50
	s_mov_b32 s19, 0x3fd3c6ef
	s_delay_alu instid0(VALU_DEP_1) | instskip(NEXT) | instid1(VALU_DEP_1)
	v_mul_lo_u16 v50, v50, 11
	v_sub_nc_u16 v114, v48, v50
	s_delay_alu instid0(VALU_DEP_1) | instskip(NEXT) | instid1(VALU_DEP_1)
	v_lshlrev_b16 v50, 2, v114
	v_and_b32_e32 v50, 0xffff, v50
	s_delay_alu instid0(VALU_DEP_1)
	v_lshlrev_b32_e32 v52, 4, v50
	s_clause 0x1
	global_load_b128 v[53:56], v52, s[2:3] offset:16
	global_load_b128 v[115:118], v52, s[2:3]
	s_waitcnt vmcnt(1) lgkmcnt(2)
	v_mul_f64 v[50:51], v[42:43], v[55:56]
	scratch_store_b128 off, v[53:56], off offset:572 ; 16-byte Folded Spill
	v_fma_f64 v[50:51], v[40:41], v[53:54], -v[50:51]
	v_mul_f64 v[40:41], v[40:41], v[55:56]
	s_delay_alu instid0(VALU_DEP_1)
	v_fma_f64 v[40:41], v[42:43], v[53:54], v[40:41]
	s_clause 0x1
	global_load_b128 v[53:56], v52, s[2:3] offset:32
	global_load_b128 v[119:122], v52, s[2:3] offset:48
	s_waitcnt vmcnt(2)
	scratch_store_b128 off, v[115:118], off offset:588 ; 16-byte Folded Spill
	s_waitcnt vmcnt(1) lgkmcnt(1)
	v_mul_f64 v[42:43], v[38:39], v[55:56]
	scratch_store_b128 off, v[53:56], off offset:604 ; 16-byte Folded Spill
	s_waitcnt vmcnt(0)
	scratch_store_b128 off, v[119:122], off offset:620 ; 16-byte Folded Spill
	v_fma_f64 v[42:43], v[36:37], v[53:54], -v[42:43]
	v_mul_f64 v[36:37], v[36:37], v[55:56]
	s_delay_alu instid0(VALU_DEP_1) | instskip(SKIP_1) | instid1(VALU_DEP_1)
	v_fma_f64 v[52:53], v[38:39], v[53:54], v[36:37]
	v_mul_f64 v[36:37], v[110:111], v[117:118]
	v_fma_f64 v[54:55], v[108:109], v[115:116], -v[36:37]
	v_mul_f64 v[36:37], v[108:109], v[117:118]
	s_delay_alu instid0(VALU_DEP_1) | instskip(SKIP_2) | instid1(VALU_DEP_1)
	v_fma_f64 v[58:59], v[110:111], v[115:116], v[36:37]
	s_waitcnt lgkmcnt(0)
	v_mul_f64 v[36:37], v[44:45], v[121:122]
	v_fma_f64 v[56:57], v[46:47], v[119:120], v[36:37]
	v_mul_f64 v[36:37], v[46:47], v[121:122]
	s_delay_alu instid0(VALU_DEP_1) | instskip(SKIP_1) | instid1(VALU_DEP_1)
	v_fma_f64 v[44:45], v[44:45], v[119:120], -v[36:37]
	v_and_b32_e32 v36, 0xff, v231
	v_mul_lo_u16 v36, 0x75, v36
	s_delay_alu instid0(VALU_DEP_1) | instskip(NEXT) | instid1(VALU_DEP_1)
	v_lshrrev_b16 v36, 8, v36
	v_sub_nc_u16 v37, v231, v36
	s_delay_alu instid0(VALU_DEP_1) | instskip(NEXT) | instid1(VALU_DEP_1)
	v_lshrrev_b16 v37, 1, v37
	v_and_b32_e32 v37, 0x7f, v37
	s_delay_alu instid0(VALU_DEP_1) | instskip(NEXT) | instid1(VALU_DEP_1)
	v_add_nc_u16 v36, v37, v36
	v_lshrrev_b16 v47, 3, v36
	s_delay_alu instid0(VALU_DEP_1) | instskip(SKIP_1) | instid1(VALU_DEP_2)
	v_mul_lo_u16 v36, v47, 11
	v_and_b32_e32 v47, 0xffff, v47
	v_sub_nc_u16 v36, v231, v36
	s_delay_alu instid0(VALU_DEP_2) | instskip(NEXT) | instid1(VALU_DEP_2)
	v_mul_u32_u24_e32 v47, 55, v47
	v_and_b32_e32 v133, 0xff, v36
	s_delay_alu instid0(VALU_DEP_1) | instskip(SKIP_4) | instid1(VALU_DEP_1)
	v_lshlrev_b32_e32 v38, 6, v133
	s_clause 0x1
	global_load_b128 v[115:118], v38, s[2:3]
	global_load_b128 v[123:126], v38, s[2:3] offset:16
	v_add_lshl_u32 v47, v47, v133, 4
	v_mov_b32_e32 v162, v47
	s_waitcnt vmcnt(1)
	v_mul_f64 v[36:37], v[106:107], v[117:118]
	scratch_store_b128 off, v[115:118], off offset:492 ; 16-byte Folded Spill
	v_fma_f64 v[108:109], v[104:105], v[115:116], -v[36:37]
	v_mul_f64 v[36:37], v[104:105], v[117:118]
	s_delay_alu instid0(VALU_DEP_1) | instskip(SKIP_1) | instid1(VALU_DEP_1)
	v_fma_f64 v[104:105], v[106:107], v[115:116], v[36:37]
	v_and_b32_e32 v36, 0xff, v196
	v_mul_lo_u16 v36, 0x75, v36
	s_delay_alu instid0(VALU_DEP_1) | instskip(NEXT) | instid1(VALU_DEP_1)
	v_lshrrev_b16 v36, 8, v36
	v_sub_nc_u16 v37, v196, v36
	s_delay_alu instid0(VALU_DEP_1) | instskip(NEXT) | instid1(VALU_DEP_1)
	v_lshrrev_b16 v37, 1, v37
	v_and_b32_e32 v37, 0x7f, v37
	s_delay_alu instid0(VALU_DEP_1) | instskip(NEXT) | instid1(VALU_DEP_1)
	v_add_nc_u16 v36, v37, v36
	v_lshrrev_b16 v136, 3, v36
	s_delay_alu instid0(VALU_DEP_1) | instskip(NEXT) | instid1(VALU_DEP_1)
	v_mul_lo_u16 v36, v136, 11
	v_sub_nc_u16 v36, v196, v36
	s_delay_alu instid0(VALU_DEP_1) | instskip(NEXT) | instid1(VALU_DEP_1)
	v_and_b32_e32 v137, 0xff, v36
	v_lshlrev_b32_e32 v39, 6, v137
	s_clause 0x1
	global_load_b128 v[119:122], v39, s[2:3]
	global_load_b128 v[115:118], v39, s[2:3] offset:16
	s_waitcnt vmcnt(2)
	scratch_store_b128 off, v[123:126], off offset:476 ; 16-byte Folded Spill
	s_waitcnt vmcnt(1)
	v_mul_f64 v[36:37], v[102:103], v[121:122]
	scratch_store_b128 off, v[119:122], off offset:364 ; 16-byte Folded Spill
	s_waitcnt vmcnt(0)
	scratch_store_b128 off, v[115:118], off offset:348 ; 16-byte Folded Spill
	v_fma_f64 v[106:107], v[100:101], v[119:120], -v[36:37]
	v_mul_f64 v[36:37], v[100:101], v[121:122]
	s_delay_alu instid0(VALU_DEP_1) | instskip(SKIP_1) | instid1(VALU_DEP_1)
	v_fma_f64 v[100:101], v[102:103], v[119:120], v[36:37]
	v_mul_f64 v[36:37], v[98:99], v[125:126]
	v_fma_f64 v[102:103], v[96:97], v[123:124], -v[36:37]
	v_mul_f64 v[36:37], v[96:97], v[125:126]
	s_delay_alu instid0(VALU_DEP_1) | instskip(SKIP_1) | instid1(VALU_DEP_1)
	v_fma_f64 v[96:97], v[98:99], v[123:124], v[36:37]
	v_mul_f64 v[36:37], v[94:95], v[117:118]
	v_fma_f64 v[98:99], v[92:93], v[115:116], -v[36:37]
	v_mul_f64 v[36:37], v[92:93], v[117:118]
	s_delay_alu instid0(VALU_DEP_1)
	v_fma_f64 v[92:93], v[94:95], v[115:116], v[36:37]
	s_clause 0x1
	global_load_b128 v[172:175], v38, s[2:3] offset:32
	global_load_b128 v[115:118], v38, s[2:3] offset:48
	s_waitcnt vmcnt(1)
	v_mul_f64 v[36:37], v[90:91], v[174:175]
	s_waitcnt vmcnt(0)
	scratch_store_b128 off, v[115:118], off offset:524 ; 16-byte Folded Spill
	v_fma_f64 v[94:95], v[88:89], v[172:173], -v[36:37]
	v_mul_f64 v[36:37], v[88:89], v[174:175]
	s_delay_alu instid0(VALU_DEP_1) | instskip(SKIP_1) | instid1(VALU_DEP_1)
	v_fma_f64 v[88:89], v[90:91], v[172:173], v[36:37]
	v_mul_f64 v[36:37], v[86:87], v[117:118]
	v_fma_f64 v[90:91], v[84:85], v[115:116], -v[36:37]
	v_mul_f64 v[36:37], v[84:85], v[117:118]
	s_delay_alu instid0(VALU_DEP_1)
	v_fma_f64 v[84:85], v[86:87], v[115:116], v[36:37]
	s_clause 0x1
	global_load_b128 v[119:122], v39, s[2:3] offset:32
	global_load_b128 v[115:118], v39, s[2:3] offset:48
	s_waitcnt vmcnt(1)
	v_mul_f64 v[36:37], v[82:83], v[121:122]
	scratch_store_b128 off, v[119:122], off offset:396 ; 16-byte Folded Spill
	s_waitcnt vmcnt(0)
	scratch_store_b128 off, v[115:118], off offset:380 ; 16-byte Folded Spill
	v_fma_f64 v[86:87], v[80:81], v[119:120], -v[36:37]
	v_mul_f64 v[36:37], v[80:81], v[121:122]
	s_delay_alu instid0(VALU_DEP_1) | instskip(SKIP_1) | instid1(VALU_DEP_1)
	v_fma_f64 v[80:81], v[82:83], v[119:120], v[36:37]
	v_mul_f64 v[36:37], v[78:79], v[117:118]
	v_fma_f64 v[82:83], v[76:77], v[115:116], -v[36:37]
	v_mul_f64 v[36:37], v[76:77], v[117:118]
	s_delay_alu instid0(VALU_DEP_1) | instskip(SKIP_1) | instid1(VALU_DEP_1)
	v_fma_f64 v[76:77], v[78:79], v[115:116], v[36:37]
	v_add_co_u32 v36, s1, 0x6e, v231
	v_add_co_ci_u32_e64 v37, null, 0, 0, s1
	s_delay_alu instid0(VALU_DEP_2) | instskip(NEXT) | instid1(VALU_DEP_1)
	v_and_b32_e32 v46, 0xff, v36
	v_mul_lo_u16 v38, 0x75, v46
	s_delay_alu instid0(VALU_DEP_1) | instskip(NEXT) | instid1(VALU_DEP_1)
	v_lshrrev_b16 v38, 8, v38
	v_sub_nc_u16 v39, v36, v38
	s_delay_alu instid0(VALU_DEP_1) | instskip(NEXT) | instid1(VALU_DEP_1)
	v_lshrrev_b16 v39, 1, v39
	v_and_b32_e32 v39, 0x7f, v39
	s_delay_alu instid0(VALU_DEP_1) | instskip(NEXT) | instid1(VALU_DEP_1)
	v_add_nc_u16 v38, v39, v38
	v_lshrrev_b16 v138, 3, v38
	s_delay_alu instid0(VALU_DEP_1) | instskip(NEXT) | instid1(VALU_DEP_1)
	v_mul_lo_u16 v38, v138, 11
	v_sub_nc_u16 v38, v36, v38
	s_delay_alu instid0(VALU_DEP_1) | instskip(NEXT) | instid1(VALU_DEP_1)
	v_and_b32_e32 v139, 0xff, v38
	v_lshlrev_b32_e32 v78, 6, v139
	s_clause 0x1
	global_load_b128 v[115:118], v78, s[2:3]
	global_load_b128 v[119:122], v78, s[2:3] offset:16
	s_waitcnt vmcnt(1)
	v_mul_f64 v[38:39], v[74:75], v[117:118]
	scratch_store_b128 off, v[115:118], off offset:444 ; 16-byte Folded Spill
	s_waitcnt vmcnt(0)
	scratch_store_b128 off, v[119:122], off offset:412 ; 16-byte Folded Spill
	v_fma_f64 v[110:111], v[72:73], v[115:116], -v[38:39]
	v_mul_f64 v[38:39], v[72:73], v[117:118]
	s_delay_alu instid0(VALU_DEP_1) | instskip(SKIP_1) | instid1(VALU_DEP_1)
	v_fma_f64 v[115:116], v[74:75], v[115:116], v[38:39]
	v_mul_f64 v[38:39], v[70:71], v[121:122]
	v_fma_f64 v[117:118], v[68:69], v[119:120], -v[38:39]
	v_mul_f64 v[38:39], v[68:69], v[121:122]
	s_delay_alu instid0(VALU_DEP_1)
	v_fma_f64 v[119:120], v[70:71], v[119:120], v[38:39]
	s_clause 0x1
	global_load_b128 v[72:75], v78, s[2:3] offset:32
	global_load_b128 v[68:71], v78, s[2:3] offset:48
	v_add_f64 v[78:79], v[106:107], -v[82:83]
	s_waitcnt vmcnt(1)
	v_mul_f64 v[38:39], v[66:67], v[74:75]
	scratch_store_b128 off, v[72:75], off offset:460 ; 16-byte Folded Spill
	s_waitcnt vmcnt(0)
	scratch_store_b128 off, v[68:71], off offset:428 ; 16-byte Folded Spill
	v_fma_f64 v[121:122], v[64:65], v[72:73], -v[38:39]
	v_mul_f64 v[38:39], v[64:65], v[74:75]
	v_add_f64 v[74:75], v[92:93], -v[80:81]
	s_delay_alu instid0(VALU_DEP_2) | instskip(SKIP_1) | instid1(VALU_DEP_1)
	v_fma_f64 v[123:124], v[66:67], v[72:73], v[38:39]
	v_mul_f64 v[38:39], v[62:63], v[70:71]
	v_fma_f64 v[125:126], v[60:61], v[68:69], -v[38:39]
	v_mul_f64 v[38:39], v[60:61], v[70:71]
	s_delay_alu instid0(VALU_DEP_1) | instskip(SKIP_1) | instid1(VALU_DEP_1)
	v_fma_f64 v[127:128], v[62:63], v[68:69], v[38:39]
	v_add_co_u32 v38, s1, 0xa5, v231
	v_add_co_ci_u32_e64 v39, null, 0, 0, s1
	s_delay_alu instid0(VALU_DEP_2) | instskip(NEXT) | instid1(VALU_DEP_1)
	v_and_b32_e32 v60, 0xff, v38
	v_mul_lo_u16 v60, 0x75, v60
	s_delay_alu instid0(VALU_DEP_1) | instskip(NEXT) | instid1(VALU_DEP_1)
	v_lshrrev_b16 v60, 8, v60
	v_sub_nc_u16 v61, v38, v60
	s_delay_alu instid0(VALU_DEP_1) | instskip(NEXT) | instid1(VALU_DEP_1)
	v_lshrrev_b16 v61, 1, v61
	v_and_b32_e32 v61, 0x7f, v61
	s_delay_alu instid0(VALU_DEP_1) | instskip(NEXT) | instid1(VALU_DEP_1)
	v_add_nc_u16 v60, v61, v60
	v_lshrrev_b16 v140, 3, v60
	s_delay_alu instid0(VALU_DEP_1) | instskip(NEXT) | instid1(VALU_DEP_1)
	v_mul_lo_u16 v60, v140, 11
	v_sub_nc_u16 v60, v38, v60
	s_delay_alu instid0(VALU_DEP_1) | instskip(NEXT) | instid1(VALU_DEP_1)
	v_and_b32_e32 v141, 0xff, v60
	v_lshlrev_b32_e32 v62, 6, v141
	s_clause 0x1
	global_load_b128 v[67:70], v62, s[2:3]
	global_load_b128 v[63:66], v62, s[2:3] offset:16
	s_waitcnt vmcnt(1)
	v_mul_f64 v[60:61], v[34:35], v[69:70]
	scratch_store_b128 off, v[67:70], off offset:556 ; 16-byte Folded Spill
	s_waitcnt vmcnt(0)
	scratch_store_b128 off, v[63:66], off offset:508 ; 16-byte Folded Spill
	v_fma_f64 v[129:130], v[32:33], v[67:68], -v[60:61]
	v_mul_f64 v[32:33], v[32:33], v[69:70]
	v_add_f64 v[60:61], v[50:51], -v[42:43]
	v_add_f64 v[70:71], v[88:89], -v[84:85]
	s_delay_alu instid0(VALU_DEP_3) | instskip(SKIP_3) | instid1(VALU_DEP_3)
	v_fma_f64 v[131:132], v[34:35], v[67:68], v[32:33]
	v_mul_f64 v[32:33], v[30:31], v[65:66]
	v_add_f64 v[34:35], v[54:55], -v[44:45]
	v_add_f64 v[68:69], v[94:95], -v[90:91]
	v_fma_f64 v[148:149], v[28:29], v[63:64], -v[32:33]
	v_mul_f64 v[28:29], v[28:29], v[65:66]
	v_add_f64 v[66:67], v[96:97], -v[104:105]
	s_delay_alu instid0(VALU_DEP_2)
	v_fma_f64 v[150:151], v[30:31], v[63:64], v[28:29]
	s_clause 0x1
	global_load_b128 v[164:167], v62, s[2:3] offset:32
	global_load_b128 v[30:33], v62, s[2:3] offset:48
	v_add_f64 v[64:65], v[102:103], -v[108:109]
	s_waitcnt vmcnt(1)
	v_mul_f64 v[28:29], v[26:27], v[166:167]
	s_waitcnt vmcnt(0)
	scratch_store_b128 off, v[30:33], off offset:540 ; 16-byte Folded Spill
	v_fma_f64 v[168:169], v[24:25], v[164:165], -v[28:29]
	v_mul_f64 v[24:25], v[24:25], v[166:167]
	v_add_f64 v[28:29], v[58:59], -v[56:57]
	s_delay_alu instid0(VALU_DEP_2) | instskip(SKIP_2) | instid1(VALU_DEP_2)
	v_fma_f64 v[170:171], v[26:27], v[164:165], v[24:25]
	v_mul_f64 v[24:25], v[22:23], v[32:33]
	v_add_f64 v[26:27], v[40:41], v[52:53]
	v_fma_f64 v[176:177], v[20:21], v[30:31], -v[24:25]
	v_mul_f64 v[20:21], v[20:21], v[32:33]
	v_add_f64 v[24:25], v[56:57], -v[52:53]
	s_delay_alu instid0(VALU_DEP_4) | instskip(NEXT) | instid1(VALU_DEP_3)
	v_fma_f64 v[26:27], v[26:27], -0.5, v[2:3]
	v_fma_f64 v[178:179], v[22:23], v[30:31], v[20:21]
	v_add_f64 v[20:21], v[54:55], -v[50:51]
	v_add_f64 v[22:23], v[44:45], -v[42:43]
	v_add_f64 v[30:31], v[40:41], -v[52:53]
	v_fma_f64 v[62:63], v[34:35], s[16:17], v[26:27]
	v_fma_f64 v[26:27], v[34:35], s[14:15], v[26:27]
	s_delay_alu instid0(VALU_DEP_4) | instskip(SKIP_1) | instid1(VALU_DEP_4)
	v_add_f64 v[20:21], v[20:21], v[22:23]
	v_add_f64 v[22:23], v[58:59], -v[40:41]
	v_fma_f64 v[62:63], v[60:61], s[12:13], v[62:63]
	s_delay_alu instid0(VALU_DEP_4) | instskip(NEXT) | instid1(VALU_DEP_3)
	v_fma_f64 v[26:27], v[60:61], s[8:9], v[26:27]
	v_add_f64 v[22:23], v[22:23], v[24:25]
	v_add_f64 v[24:25], v[50:51], v[42:43]
	s_delay_alu instid0(VALU_DEP_2) | instskip(NEXT) | instid1(VALU_DEP_2)
	v_fma_f64 v[194:195], v[22:23], s[18:19], v[62:63]
	v_fma_f64 v[24:25], v[24:25], -0.5, v[0:1]
	v_fma_f64 v[22:23], v[22:23], s[18:19], v[26:27]
	v_add_f64 v[26:27], v[58:59], v[56:57]
	s_delay_alu instid0(VALU_DEP_3) | instskip(SKIP_1) | instid1(VALU_DEP_3)
	v_fma_f64 v[32:33], v[28:29], s[14:15], v[24:25]
	v_fma_f64 v[24:25], v[28:29], s[16:17], v[24:25]
	v_fma_f64 v[26:27], v[26:27], -0.5, v[2:3]
	s_delay_alu instid0(VALU_DEP_3) | instskip(NEXT) | instid1(VALU_DEP_3)
	v_fma_f64 v[32:33], v[30:31], s[8:9], v[32:33]
	v_fma_f64 v[24:25], v[30:31], s[12:13], v[24:25]
	s_delay_alu instid0(VALU_DEP_2) | instskip(NEXT) | instid1(VALU_DEP_2)
	v_fma_f64 v[192:193], v[20:21], s[18:19], v[32:33]
	v_fma_f64 v[20:21], v[20:21], s[18:19], v[24:25]
	v_add_f64 v[32:33], v[40:41], -v[58:59]
	scratch_store_b128 off, v[20:23], off offset:8 ; 16-byte Folded Spill
	v_add_f64 v[20:21], v[50:51], -v[54:55]
	v_add_f64 v[22:23], v[42:43], -v[44:45]
	s_delay_alu instid0(VALU_DEP_1) | instskip(SKIP_1) | instid1(VALU_DEP_1)
	v_add_f64 v[20:21], v[20:21], v[22:23]
	v_add_f64 v[22:23], v[54:55], v[44:45]
	v_fma_f64 v[22:23], v[22:23], -0.5, v[0:1]
	s_delay_alu instid0(VALU_DEP_1)
	v_fma_f64 v[24:25], v[30:31], s[16:17], v[22:23]
	v_fma_f64 v[22:23], v[30:31], s[14:15], v[22:23]
	;; [unrolled: 1-line block ×4, first 2 shown]
	v_add_f64 v[60:61], v[52:53], -v[56:57]
	v_fma_f64 v[24:25], v[28:29], s[8:9], v[24:25]
	v_fma_f64 v[22:23], v[28:29], s[12:13], v[22:23]
	;; [unrolled: 1-line block ×4, first 2 shown]
	v_add_f64 v[32:33], v[32:33], v[60:61]
	v_add_f64 v[34:35], v[96:97], -v[88:89]
	v_fma_f64 v[60:61], v[20:21], s[18:19], v[24:25]
	v_fma_f64 v[20:21], v[20:21], s[18:19], v[22:23]
	s_delay_alu instid0(VALU_DEP_4)
	v_fma_f64 v[62:63], v[32:33], s[18:19], v[28:29]
	v_fma_f64 v[22:23], v[32:33], s[18:19], v[26:27]
	v_add_f64 v[32:33], v[104:105], -v[84:85]
	s_clause 0x1
	scratch_store_b128 off, v[60:63], off offset:24
	scratch_store_b128 off, v[20:23], off offset:40
	v_add_f64 v[20:21], v[108:109], -v[102:103]
	v_add_f64 v[22:23], v[90:91], -v[94:95]
	;; [unrolled: 1-line block ×4, first 2 shown]
	s_waitcnt_vscnt null, 0x0
	s_barrier
	buffer_gl0_inv
	v_add_f64 v[24:25], v[20:21], v[22:23]
	v_add_f64 v[20:21], v[104:105], -v[96:97]
	v_add_f64 v[22:23], v[84:85], -v[88:89]
	s_delay_alu instid0(VALU_DEP_1) | instskip(SKIP_1) | instid1(VALU_DEP_1)
	v_add_f64 v[26:27], v[20:21], v[22:23]
	v_add_f64 v[20:21], v[102:103], v[94:95]
	v_fma_f64 v[28:29], v[20:21], -0.5, v[16:17]
	v_add_f64 v[20:21], v[96:97], v[88:89]
	s_delay_alu instid0(VALU_DEP_1) | instskip(NEXT) | instid1(VALU_DEP_3)
	v_fma_f64 v[30:31], v[20:21], -0.5, v[18:19]
	v_fma_f64 v[20:21], v[32:33], s[14:15], v[28:29]
	v_fma_f64 v[28:29], v[32:33], s[16:17], v[28:29]
	s_delay_alu instid0(VALU_DEP_3) | instskip(SKIP_1) | instid1(VALU_DEP_4)
	v_fma_f64 v[22:23], v[60:61], s[16:17], v[30:31]
	v_fma_f64 v[30:31], v[60:61], s[14:15], v[30:31]
	;; [unrolled: 1-line block ×3, first 2 shown]
	s_delay_alu instid0(VALU_DEP_4) | instskip(NEXT) | instid1(VALU_DEP_4)
	v_fma_f64 v[28:29], v[34:35], s[12:13], v[28:29]
	v_fma_f64 v[22:23], v[62:63], s[12:13], v[22:23]
	s_delay_alu instid0(VALU_DEP_4) | instskip(NEXT) | instid1(VALU_DEP_4)
	v_fma_f64 v[30:31], v[62:63], s[8:9], v[30:31]
	v_fma_f64 v[20:21], v[24:25], s[18:19], v[20:21]
	s_delay_alu instid0(VALU_DEP_4) | instskip(SKIP_4) | instid1(VALU_DEP_4)
	v_fma_f64 v[24:25], v[24:25], s[18:19], v[28:29]
	v_add_f64 v[28:29], v[108:109], v[90:91]
	v_fma_f64 v[22:23], v[26:27], s[18:19], v[22:23]
	v_fma_f64 v[26:27], v[26:27], s[18:19], v[30:31]
	v_add_f64 v[30:31], v[104:105], v[84:85]
	v_fma_f64 v[28:29], v[28:29], -0.5, v[16:17]
	v_add_f64 v[16:17], v[16:17], v[108:109]
	v_add_f64 v[108:109], v[148:149], -v[168:169]
	s_delay_alu instid0(VALU_DEP_4)
	v_fma_f64 v[30:31], v[30:31], -0.5, v[18:19]
	v_add_f64 v[18:19], v[18:19], v[104:105]
	v_fma_f64 v[72:73], v[34:35], s[16:17], v[28:29]
	v_fma_f64 v[28:29], v[34:35], s[14:15], v[28:29]
	v_add_f64 v[16:17], v[16:17], v[102:103]
	v_add_f64 v[102:103], v[123:124], -v[127:128]
	v_fma_f64 v[34:35], v[62:63], s[14:15], v[30:31]
	v_fma_f64 v[30:31], v[62:63], s[16:17], v[30:31]
	v_add_f64 v[62:63], v[64:65], v[68:69]
	v_add_f64 v[64:65], v[66:67], v[70:71]
	v_fma_f64 v[66:67], v[32:33], s[8:9], v[72:73]
	v_fma_f64 v[32:33], v[32:33], s[12:13], v[28:29]
	v_add_f64 v[18:19], v[18:19], v[96:97]
	v_add_f64 v[72:73], v[100:101], -v[76:77]
	v_add_f64 v[16:17], v[16:17], v[94:95]
	v_add_f64 v[94:95], v[117:118], -v[121:122]
	v_add_f64 v[96:97], v[117:118], -v[110:111]
	v_fma_f64 v[34:35], v[60:61], s[12:13], v[34:35]
	v_fma_f64 v[60:61], v[60:61], s[8:9], v[30:31]
	;; [unrolled: 1-line block ×4, first 2 shown]
	v_add_f64 v[62:63], v[82:83], -v[86:87]
	v_add_f64 v[18:19], v[18:19], v[88:89]
	v_add_f64 v[88:89], v[92:93], -v[100:101]
	v_add_f64 v[16:17], v[16:17], v[90:91]
	v_add_f64 v[90:91], v[98:99], -v[106:107]
	v_fma_f64 v[30:31], v[64:65], s[18:19], v[34:35]
	v_fma_f64 v[34:35], v[64:65], s[18:19], v[60:61]
	v_add_f64 v[60:61], v[106:107], -v[98:99]
	v_add_f64 v[18:19], v[18:19], v[84:85]
	v_add_f64 v[84:85], v[98:99], -v[86:87]
	ds_store_b128 v47, v[16:19]
	ds_store_b128 v47, v[20:23] offset:176
	ds_store_b128 v47, v[28:31] offset:352
	;; [unrolled: 1-line block ×3, first 2 shown]
	v_add_f64 v[64:65], v[60:61], v[62:63]
	v_add_f64 v[60:61], v[100:101], -v[92:93]
	v_add_f64 v[62:63], v[76:77], -v[80:81]
	v_and_b32_e32 v16, 0xffff, v136
	ds_store_b128 v47, v[24:27] offset:704
	v_mul_u32_u24_e32 v16, 55, v16
	s_delay_alu instid0(VALU_DEP_1) | instskip(NEXT) | instid1(VALU_DEP_1)
	v_add_lshl_u32 v16, v16, v137, 4
	v_mov_b32_e32 v163, v16
	v_add_f64 v[66:67], v[60:61], v[62:63]
	v_add_f64 v[60:61], v[98:99], v[86:87]
	s_delay_alu instid0(VALU_DEP_1) | instskip(SKIP_1) | instid1(VALU_DEP_1)
	v_fma_f64 v[68:69], v[60:61], -0.5, v[12:13]
	v_add_f64 v[60:61], v[92:93], v[80:81]
	v_fma_f64 v[70:71], v[60:61], -0.5, v[14:15]
	s_delay_alu instid0(VALU_DEP_3) | instskip(SKIP_1) | instid1(VALU_DEP_3)
	v_fma_f64 v[60:61], v[72:73], s[14:15], v[68:69]
	v_fma_f64 v[68:69], v[72:73], s[16:17], v[68:69]
	v_fma_f64 v[62:63], v[78:79], s[16:17], v[70:71]
	v_fma_f64 v[70:71], v[78:79], s[14:15], v[70:71]
	s_delay_alu instid0(VALU_DEP_4) | instskip(NEXT) | instid1(VALU_DEP_4)
	v_fma_f64 v[60:61], v[74:75], s[8:9], v[60:61]
	v_fma_f64 v[68:69], v[74:75], s[12:13], v[68:69]
	s_delay_alu instid0(VALU_DEP_4) | instskip(NEXT) | instid1(VALU_DEP_4)
	v_fma_f64 v[62:63], v[84:85], s[12:13], v[62:63]
	v_fma_f64 v[70:71], v[84:85], s[8:9], v[70:71]
	;; [unrolled: 3-line block ×3, first 2 shown]
	v_add_f64 v[68:69], v[106:107], v[82:83]
	v_fma_f64 v[62:63], v[66:67], s[18:19], v[62:63]
	v_fma_f64 v[66:67], v[66:67], s[18:19], v[70:71]
	v_add_f64 v[70:71], v[100:101], v[76:77]
	s_delay_alu instid0(VALU_DEP_4) | instskip(SKIP_2) | instid1(VALU_DEP_4)
	v_fma_f64 v[68:69], v[68:69], -0.5, v[12:13]
	v_add_f64 v[12:13], v[12:13], v[106:107]
	v_add_f64 v[106:107], v[131:132], -v[178:179]
	v_fma_f64 v[70:71], v[70:71], -0.5, v[14:15]
	v_add_f64 v[14:15], v[14:15], v[100:101]
	v_add_f64 v[100:101], v[121:122], -v[125:126]
	v_add_f64 v[12:13], v[12:13], v[98:99]
	v_add_f64 v[98:99], v[119:120], -v[115:116]
	s_delay_alu instid0(VALU_DEP_4) | instskip(SKIP_1) | instid1(VALU_DEP_4)
	v_add_f64 v[14:15], v[14:15], v[92:93]
	v_add_f64 v[92:93], v[110:111], -v[125:126]
	v_add_f64 v[12:13], v[12:13], v[86:87]
	v_add_f64 v[86:87], v[86:87], -v[82:83]
	s_delay_alu instid0(VALU_DEP_4) | instskip(NEXT) | instid1(VALU_DEP_3)
	v_add_f64 v[14:15], v[14:15], v[80:81]
	v_add_f64 v[12:13], v[12:13], v[82:83]
	s_delay_alu instid0(VALU_DEP_3) | instskip(SKIP_1) | instid1(VALU_DEP_4)
	v_add_f64 v[82:83], v[90:91], v[86:87]
	v_add_f64 v[90:91], v[119:120], -v[123:124]
	v_add_f64 v[14:15], v[14:15], v[76:77]
	v_add_f64 v[76:77], v[80:81], -v[76:77]
	v_fma_f64 v[80:81], v[74:75], s[16:17], v[68:69]
	v_fma_f64 v[68:69], v[74:75], s[14:15], v[68:69]
	;; [unrolled: 1-line block ×4, first 2 shown]
	v_add_f64 v[76:77], v[88:89], v[76:77]
	v_fma_f64 v[80:81], v[72:73], s[8:9], v[80:81]
	v_fma_f64 v[72:73], v[72:73], s[12:13], v[68:69]
	;; [unrolled: 1-line block ×4, first 2 shown]
	v_add_f64 v[88:89], v[115:116], -v[127:128]
	v_fma_f64 v[68:69], v[82:83], s[18:19], v[80:81]
	v_fma_f64 v[72:73], v[82:83], s[18:19], v[72:73]
	;; [unrolled: 1-line block ×4, first 2 shown]
	v_add_f64 v[76:77], v[110:111], -v[117:118]
	v_add_f64 v[78:79], v[125:126], -v[121:122]
	ds_store_b128 v16, v[12:15]
	ds_store_b128 v16, v[60:63] offset:176
	ds_store_b128 v16, v[68:71] offset:352
	;; [unrolled: 1-line block ×3, first 2 shown]
	v_and_b32_e32 v12, 0xffff, v138
	ds_store_b128 v16, v[64:67] offset:704
	v_add_f64 v[80:81], v[76:77], v[78:79]
	v_add_f64 v[76:77], v[115:116], -v[119:120]
	v_add_f64 v[78:79], v[127:128], -v[123:124]
	v_mul_u32_u24_e32 v12, 55, v12
	s_delay_alu instid0(VALU_DEP_1) | instskip(NEXT) | instid1(VALU_DEP_3)
	v_add_lshl_u32 v12, v12, v139, 4
	v_add_f64 v[82:83], v[76:77], v[78:79]
	v_add_f64 v[76:77], v[117:118], v[121:122]
	s_delay_alu instid0(VALU_DEP_1) | instskip(SKIP_1) | instid1(VALU_DEP_1)
	v_fma_f64 v[84:85], v[76:77], -0.5, v[8:9]
	v_add_f64 v[76:77], v[119:120], v[123:124]
	v_fma_f64 v[86:87], v[76:77], -0.5, v[10:11]
	s_delay_alu instid0(VALU_DEP_3) | instskip(SKIP_1) | instid1(VALU_DEP_3)
	v_fma_f64 v[76:77], v[88:89], s[14:15], v[84:85]
	v_fma_f64 v[84:85], v[88:89], s[16:17], v[84:85]
	;; [unrolled: 1-line block ×4, first 2 shown]
	s_delay_alu instid0(VALU_DEP_4) | instskip(NEXT) | instid1(VALU_DEP_4)
	v_fma_f64 v[76:77], v[90:91], s[8:9], v[76:77]
	v_fma_f64 v[84:85], v[90:91], s[12:13], v[84:85]
	s_delay_alu instid0(VALU_DEP_4) | instskip(NEXT) | instid1(VALU_DEP_4)
	v_fma_f64 v[78:79], v[94:95], s[12:13], v[78:79]
	v_fma_f64 v[86:87], v[94:95], s[8:9], v[86:87]
	;; [unrolled: 3-line block ×3, first 2 shown]
	v_add_f64 v[84:85], v[110:111], v[125:126]
	v_fma_f64 v[78:79], v[82:83], s[18:19], v[78:79]
	v_fma_f64 v[82:83], v[82:83], s[18:19], v[86:87]
	v_add_f64 v[86:87], v[115:116], v[127:128]
	s_delay_alu instid0(VALU_DEP_4) | instskip(SKIP_2) | instid1(VALU_DEP_4)
	v_fma_f64 v[84:85], v[84:85], -0.5, v[8:9]
	v_add_f64 v[8:9], v[8:9], v[110:111]
	v_add_f64 v[110:111], v[129:130], -v[176:177]
	v_fma_f64 v[86:87], v[86:87], -0.5, v[10:11]
	v_add_f64 v[10:11], v[10:11], v[115:116]
	v_fma_f64 v[104:105], v[90:91], s[16:17], v[84:85]
	v_fma_f64 v[84:85], v[90:91], s[14:15], v[84:85]
	v_add_f64 v[8:9], v[8:9], v[117:118]
	v_add_f64 v[115:116], v[129:130], -v[148:149]
	v_add_f64 v[117:118], v[131:132], -v[150:151]
	v_fma_f64 v[90:91], v[94:95], s[14:15], v[86:87]
	v_fma_f64 v[86:87], v[94:95], s[16:17], v[86:87]
	v_add_f64 v[94:95], v[96:97], v[100:101]
	v_add_f64 v[96:97], v[98:99], v[102:103]
	v_fma_f64 v[98:99], v[88:89], s[8:9], v[104:105]
	v_fma_f64 v[88:89], v[88:89], s[12:13], v[84:85]
	v_add_f64 v[104:105], v[150:151], -v[170:171]
	v_add_f64 v[10:11], v[10:11], v[119:120]
	v_add_f64 v[8:9], v[8:9], v[121:122]
	v_add_f64 v[119:120], v[176:177], -v[168:169]
	v_add_f64 v[121:122], v[178:179], -v[170:171]
	v_fma_f64 v[90:91], v[92:93], s[12:13], v[90:91]
	v_fma_f64 v[92:93], v[92:93], s[8:9], v[86:87]
	;; [unrolled: 1-line block ×4, first 2 shown]
	v_add_f64 v[94:95], v[168:169], -v[176:177]
	v_add_f64 v[10:11], v[10:11], v[123:124]
	v_add_f64 v[8:9], v[8:9], v[125:126]
	v_fma_f64 v[86:87], v[96:97], s[18:19], v[90:91]
	v_fma_f64 v[90:91], v[96:97], s[18:19], v[92:93]
	v_add_f64 v[92:93], v[148:149], -v[129:130]
	v_add_f64 v[10:11], v[10:11], v[127:128]
	ds_store_b128 v12, v[8:11]
	ds_store_b128 v12, v[76:79] offset:176
	ds_store_b128 v12, v[84:87] offset:352
	;; [unrolled: 1-line block ×3, first 2 shown]
	v_add_f64 v[96:97], v[92:93], v[94:95]
	v_add_f64 v[92:93], v[150:151], -v[131:132]
	v_add_f64 v[94:95], v[170:171], -v[178:179]
	v_and_b32_e32 v8, 0xffff, v140
	scratch_store_b32 off, v12, off offset:308 ; 4-byte Folded Spill
	ds_store_b128 v12, v[80:83] offset:704
	v_mul_u32_u24_e32 v8, 55, v8
	s_delay_alu instid0(VALU_DEP_1) | instskip(SKIP_2) | instid1(VALU_DEP_1)
	v_add_lshl_u32 v8, v8, v141, 4
	v_add_f64 v[98:99], v[92:93], v[94:95]
	v_add_f64 v[92:93], v[129:130], v[176:177]
	v_fma_f64 v[100:101], v[92:93], -0.5, v[4:5]
	v_add_f64 v[92:93], v[131:132], v[178:179]
	s_delay_alu instid0(VALU_DEP_1) | instskip(NEXT) | instid1(VALU_DEP_3)
	v_fma_f64 v[102:103], v[92:93], -0.5, v[6:7]
	v_fma_f64 v[92:93], v[104:105], s[16:17], v[100:101]
	v_fma_f64 v[100:101], v[104:105], s[14:15], v[100:101]
	s_delay_alu instid0(VALU_DEP_3) | instskip(SKIP_1) | instid1(VALU_DEP_4)
	v_fma_f64 v[94:95], v[108:109], s[14:15], v[102:103]
	v_fma_f64 v[102:103], v[108:109], s[16:17], v[102:103]
	;; [unrolled: 1-line block ×3, first 2 shown]
	s_delay_alu instid0(VALU_DEP_4) | instskip(NEXT) | instid1(VALU_DEP_4)
	v_fma_f64 v[100:101], v[106:107], s[12:13], v[100:101]
	v_fma_f64 v[94:95], v[110:111], s[12:13], v[94:95]
	s_delay_alu instid0(VALU_DEP_4) | instskip(NEXT) | instid1(VALU_DEP_4)
	v_fma_f64 v[102:103], v[110:111], s[8:9], v[102:103]
	v_fma_f64 v[92:93], v[96:97], s[18:19], v[92:93]
	s_delay_alu instid0(VALU_DEP_4) | instskip(SKIP_4) | instid1(VALU_DEP_4)
	v_fma_f64 v[96:97], v[96:97], s[18:19], v[100:101]
	v_add_f64 v[100:101], v[148:149], v[168:169]
	v_fma_f64 v[94:95], v[98:99], s[18:19], v[94:95]
	v_fma_f64 v[98:99], v[98:99], s[18:19], v[102:103]
	v_add_f64 v[102:103], v[150:151], v[170:171]
	v_fma_f64 v[100:101], v[100:101], -0.5, v[4:5]
	v_add_f64 v[4:5], v[4:5], v[129:130]
	s_delay_alu instid0(VALU_DEP_3) | instskip(SKIP_1) | instid1(VALU_DEP_4)
	v_fma_f64 v[102:103], v[102:103], -0.5, v[6:7]
	v_add_f64 v[6:7], v[6:7], v[131:132]
	v_fma_f64 v[123:124], v[106:107], s[14:15], v[100:101]
	s_delay_alu instid0(VALU_DEP_4)
	v_add_f64 v[4:5], v[4:5], v[148:149]
	v_fma_f64 v[100:101], v[106:107], s[16:17], v[100:101]
	v_fma_f64 v[106:107], v[110:111], s[16:17], v[102:103]
	v_add_f64 v[6:7], v[6:7], v[150:151]
	v_fma_f64 v[102:103], v[110:111], s[14:15], v[102:103]
	v_add_f64 v[4:5], v[4:5], v[168:169]
	v_add_f64 v[110:111], v[115:116], v[119:120]
	;; [unrolled: 1-line block ×3, first 2 shown]
	v_fma_f64 v[117:118], v[104:105], s[8:9], v[123:124]
	v_fma_f64 v[104:105], v[104:105], s[12:13], v[100:101]
	;; [unrolled: 1-line block ×3, first 2 shown]
	v_add_f64 v[6:7], v[6:7], v[170:171]
	v_fma_f64 v[108:109], v[108:109], s[8:9], v[102:103]
	v_add_f64 v[4:5], v[4:5], v[176:177]
	v_fma_f64 v[100:101], v[110:111], s[18:19], v[117:118]
	v_fma_f64 v[104:105], v[110:111], s[18:19], v[104:105]
	;; [unrolled: 1-line block ×3, first 2 shown]
	v_add_f64 v[6:7], v[6:7], v[178:179]
	v_fma_f64 v[106:107], v[115:116], s[18:19], v[108:109]
	ds_store_b128 v8, v[4:7]
	ds_store_b128 v8, v[100:103] offset:176
	ds_store_b128 v8, v[92:95] offset:352
	ds_store_b128 v8, v[96:99] offset:528
	v_and_b32_e32 v4, 0xffff, v114
	scratch_store_b32 off, v8, off offset:304 ; 4-byte Folded Spill
	ds_store_b128 v8, v[104:107] offset:704
	scratch_store_b32 off, v4, off offset:264 ; 4-byte Folded Spill
	s_and_saveexec_b32 s1, s0
	s_cbranch_execz .LBB0_11
; %bb.10:
	s_clause 0x1
	scratch_load_b32 v4, off, off offset:264
	scratch_load_b128 v[5:8], off, off offset:24
	v_add_f64 v[2:3], v[2:3], v[58:59]
	v_add_f64 v[0:1], v[0:1], v[54:55]
	s_delay_alu instid0(VALU_DEP_2) | instskip(NEXT) | instid1(VALU_DEP_2)
	v_add_f64 v[2:3], v[2:3], v[40:41]
	v_add_f64 v[0:1], v[0:1], v[50:51]
	s_delay_alu instid0(VALU_DEP_2) | instskip(NEXT) | instid1(VALU_DEP_2)
	;; [unrolled: 3-line block ×3, first 2 shown]
	v_add_f64 v[2:3], v[2:3], v[56:57]
	v_add_f64 v[0:1], v[0:1], v[44:45]
	s_waitcnt vmcnt(1)
	v_lshlrev_b32_e32 v4, 4, v4
	s_waitcnt vmcnt(0)
	ds_store_b128 v4, v[5:8] offset:17952
	scratch_load_b128 v[5:8], off, off offset:40 ; 16-byte Folded Reload
	s_waitcnt vmcnt(0)
	ds_store_b128 v4, v[5:8] offset:18128
	ds_store_b128 v4, v[0:3] offset:17600
	;; [unrolled: 1-line block ×3, first 2 shown]
	scratch_load_b128 v[0:3], off, off offset:8 ; 16-byte Folded Reload
	s_waitcnt vmcnt(0)
	ds_store_b128 v4, v[0:3] offset:18304
.LBB0_11:
	s_or_b32 exec_lo, exec_lo, s1
	v_mad_u64_u32 v[12:13], null, 0x60, v231, s[2:3]
	s_waitcnt lgkmcnt(0)
	s_waitcnt_vscnt null, 0x0
	s_barrier
	buffer_gl0_inv
	s_mov_b32 s28, 0xe976ee23
	s_mov_b32 s29, 0xbfe11646
	;; [unrolled: 1-line block ×3, first 2 shown]
	s_clause 0x3
	global_load_b128 v[84:87], v[12:13], off offset:704
	global_load_b128 v[80:83], v[12:13], off offset:720
	global_load_b128 v[72:75], v[12:13], off offset:736
	global_load_b128 v[76:79], v[12:13], off offset:752
	ds_load_b128 v[8:11], v134 offset:2640
	ds_load_b128 v[4:7], v134 offset:5280
	;; [unrolled: 1-line block ×6, first 2 shown]
	s_mov_b32 s14, 0x429ad128
	s_mov_b32 s9, 0x3fac98ee
	;; [unrolled: 1-line block ×17, first 2 shown]
	s_waitcnt vmcnt(3) lgkmcnt(5)
	v_mul_f64 v[26:27], v[10:11], v[86:87]
	v_mul_f64 v[28:29], v[8:9], v[86:87]
	s_waitcnt vmcnt(2) lgkmcnt(4)
	v_mul_f64 v[30:31], v[6:7], v[82:83]
	v_mul_f64 v[32:33], v[4:5], v[82:83]
	;; [unrolled: 3-line block ×3, first 2 shown]
	v_fma_f64 v[42:43], v[8:9], v[84:85], -v[26:27]
	v_fma_f64 v[44:45], v[10:11], v[84:85], v[28:29]
	ds_load_b128 v[8:11], v134 offset:10560
	v_fma_f64 v[50:51], v[4:5], v[80:81], -v[30:31]
	v_fma_f64 v[52:53], v[6:7], v[80:81], v[32:33]
	ds_load_b128 v[4:7], v134 offset:11440
	s_clause 0x1
	global_load_b128 v[168:171], v[12:13], off offset:768
	global_load_b128 v[148:151], v[12:13], off offset:784
	v_fma_f64 v[34:35], v[0:1], v[72:73], -v[34:35]
	v_fma_f64 v[40:41], v[2:3], v[72:73], v[40:41]
	s_waitcnt vmcnt(2) lgkmcnt(1)
	v_mul_f64 v[0:1], v[10:11], v[78:79]
	v_mul_f64 v[2:3], v[8:9], v[78:79]
	s_delay_alu instid0(VALU_DEP_2) | instskip(NEXT) | instid1(VALU_DEP_2)
	v_fma_f64 v[54:55], v[8:9], v[76:77], -v[0:1]
	v_fma_f64 v[56:57], v[10:11], v[76:77], v[2:3]
	ds_load_b128 v[0:3], v134 offset:13200
	ds_load_b128 v[8:11], v134 offset:12320
	s_waitcnt vmcnt(1) lgkmcnt(1)
	v_mul_f64 v[12:13], v[2:3], v[170:171]
	s_delay_alu instid0(VALU_DEP_1) | instskip(SKIP_1) | instid1(VALU_DEP_1)
	v_fma_f64 v[12:13], v[0:1], v[168:169], -v[12:13]
	v_mul_f64 v[0:1], v[0:1], v[170:171]
	v_fma_f64 v[58:59], v[2:3], v[168:169], v[0:1]
	ds_load_b128 v[0:3], v134 offset:15840
	ds_load_b128 v[26:29], v134 offset:16720
	s_waitcnt vmcnt(0) lgkmcnt(1)
	v_mul_f64 v[30:31], v[2:3], v[150:151]
	s_delay_alu instid0(VALU_DEP_1) | instskip(SKIP_1) | instid1(VALU_DEP_1)
	v_fma_f64 v[60:61], v[0:1], v[148:149], -v[30:31]
	v_mul_f64 v[0:1], v[0:1], v[150:151]
	v_fma_f64 v[62:63], v[2:3], v[148:149], v[0:1]
	ds_load_b128 v[0:3], v134 offset:3520
	ds_load_b128 v[30:33], v134 offset:4400
	s_waitcnt lgkmcnt(1)
	v_mul_f64 v[64:65], v[2:3], v[86:87]
	s_delay_alu instid0(VALU_DEP_1) | instskip(SKIP_1) | instid1(VALU_DEP_1)
	v_fma_f64 v[64:65], v[0:1], v[84:85], -v[64:65]
	v_mul_f64 v[0:1], v[0:1], v[86:87]
	v_fma_f64 v[66:67], v[2:3], v[84:85], v[0:1]
	v_mul_f64 v[0:1], v[20:21], v[82:83]
	s_delay_alu instid0(VALU_DEP_1) | instskip(SKIP_1) | instid1(VALU_DEP_1)
	v_fma_f64 v[68:69], v[18:19], v[80:81], -v[0:1]
	v_mul_f64 v[0:1], v[18:19], v[82:83]
	v_fma_f64 v[70:71], v[20:21], v[80:81], v[0:1]
	ds_load_b128 v[0:3], v134 offset:8800
	ds_load_b128 v[18:21], v134 offset:9680
	s_waitcnt lgkmcnt(1)
	v_mul_f64 v[88:89], v[2:3], v[74:75]
	s_delay_alu instid0(VALU_DEP_1) | instskip(SKIP_1) | instid1(VALU_DEP_1)
	v_fma_f64 v[88:89], v[0:1], v[72:73], -v[88:89]
	v_mul_f64 v[0:1], v[0:1], v[74:75]
	v_fma_f64 v[90:91], v[2:3], v[72:73], v[0:1]
	v_mul_f64 v[0:1], v[6:7], v[78:79]
	s_delay_alu instid0(VALU_DEP_1) | instskip(SKIP_1) | instid1(VALU_DEP_2)
	v_fma_f64 v[92:93], v[4:5], v[76:77], -v[0:1]
	v_mul_f64 v[0:1], v[4:5], v[78:79]
	v_add_f64 v[132:133], v[88:89], v[92:93]
	s_delay_alu instid0(VALU_DEP_2)
	v_fma_f64 v[94:95], v[6:7], v[76:77], v[0:1]
	ds_load_b128 v[0:3], v134 offset:14080
	ds_load_b128 v[4:7], v134 offset:14960
	s_waitcnt lgkmcnt(1)
	v_mul_f64 v[96:97], v[2:3], v[170:171]
	v_add_f64 v[203:204], v[90:91], v[94:95]
	s_delay_alu instid0(VALU_DEP_2) | instskip(SKIP_1) | instid1(VALU_DEP_1)
	v_fma_f64 v[96:97], v[0:1], v[168:169], -v[96:97]
	v_mul_f64 v[0:1], v[0:1], v[170:171]
	v_fma_f64 v[98:99], v[2:3], v[168:169], v[0:1]
	v_mul_f64 v[0:1], v[28:29], v[150:151]
	s_delay_alu instid0(VALU_DEP_2) | instskip(NEXT) | instid1(VALU_DEP_2)
	v_add_f64 v[201:202], v[70:71], v[98:99]
	v_fma_f64 v[100:101], v[26:27], v[148:149], -v[0:1]
	v_mul_f64 v[0:1], v[26:27], v[150:151]
	s_delay_alu instid0(VALU_DEP_2) | instskip(NEXT) | instid1(VALU_DEP_2)
	v_add_f64 v[130:131], v[64:65], v[100:101]
	v_fma_f64 v[102:103], v[28:29], v[148:149], v[0:1]
	v_mul_lo_u16 v0, 0x95, v46
	v_add_f64 v[46:47], v[68:69], v[96:97]
	s_delay_alu instid0(VALU_DEP_2) | instskip(NEXT) | instid1(VALU_DEP_1)
	v_lshrrev_b16 v0, 13, v0
	v_mul_lo_u16 v0, v0, 55
	s_delay_alu instid0(VALU_DEP_1) | instskip(NEXT) | instid1(VALU_DEP_1)
	v_sub_nc_u16 v0, v36, v0
	v_and_b32_e32 v136, 0xff, v0
	s_delay_alu instid0(VALU_DEP_1)
	v_mad_u64_u32 v[0:1], null, 0x60, v136, s[2:3]
	s_clause 0x1
	global_load_b128 v[180:183], v[0:1], off offset:704
	global_load_b128 v[176:179], v[0:1], off offset:720
	v_add_f64 v[199:200], v[66:67], v[102:103]
	s_waitcnt vmcnt(1)
	v_mul_f64 v[2:3], v[32:33], v[182:183]
	s_delay_alu instid0(VALU_DEP_1) | instskip(SKIP_3) | instid1(VALU_DEP_3)
	v_fma_f64 v[104:105], v[30:31], v[180:181], -v[2:3]
	v_mul_f64 v[2:3], v[30:31], v[182:183]
	v_add_f64 v[30:31], v[40:41], v[56:57]
	v_add_f64 v[40:41], v[56:57], -v[40:41]
	v_fma_f64 v[106:107], v[32:33], v[180:181], v[2:3]
	s_waitcnt vmcnt(0)
	v_mul_f64 v[2:3], v[24:25], v[178:179]
	s_delay_alu instid0(VALU_DEP_1) | instskip(SKIP_1) | instid1(VALU_DEP_1)
	v_fma_f64 v[108:109], v[22:23], v[176:177], -v[2:3]
	v_mul_f64 v[2:3], v[22:23], v[178:179]
	v_fma_f64 v[110:111], v[24:25], v[176:177], v[2:3]
	s_clause 0x1
	global_load_b128 v[26:29], v[0:1], off offset:736
	global_load_b128 v[22:25], v[0:1], off offset:752
	s_waitcnt vmcnt(1)
	scratch_store_b128 off, v[26:29], off offset:332 ; 16-byte Folded Spill
	s_waitcnt vmcnt(0)
	scratch_store_b128 off, v[22:25], off offset:316 ; 16-byte Folded Spill
	s_clause 0x1
	global_load_b128 v[184:187], v[0:1], off offset:768
	global_load_b128 v[188:191], v[0:1], off offset:784
	v_mul_f64 v[2:3], v[20:21], v[28:29]
	s_delay_alu instid0(VALU_DEP_1) | instskip(SKIP_4) | instid1(VALU_DEP_4)
	v_fma_f64 v[114:115], v[18:19], v[26:27], -v[2:3]
	v_mul_f64 v[2:3], v[18:19], v[28:29]
	v_add_f64 v[18:19], v[50:51], v[12:13]
	v_add_f64 v[12:13], v[50:51], -v[12:13]
	v_add_f64 v[28:29], v[52:53], v[58:59]
	v_fma_f64 v[116:117], v[20:21], v[26:27], v[2:3]
	v_mul_f64 v[2:3], v[10:11], v[24:25]
	v_add_f64 v[20:21], v[42:43], v[60:61]
	v_add_f64 v[26:27], v[44:45], v[62:63]
	v_add_f64 v[42:43], v[42:43], -v[60:61]
	v_add_f64 v[44:45], v[44:45], -v[62:63]
	v_fma_f64 v[118:119], v[8:9], v[22:23], -v[2:3]
	v_mul_f64 v[2:3], v[8:9], v[24:25]
	v_add_f64 v[8:9], v[46:47], v[130:131]
	v_add_f64 v[50:51], v[18:19], -v[20:21]
	v_add_f64 v[56:57], v[12:13], -v[42:43]
	v_add_f64 v[211:212], v[114:115], v[118:119]
	v_fma_f64 v[120:121], v[10:11], v[22:23], v[2:3]
	v_add_f64 v[197:198], v[132:133], v[8:9]
	v_add_f64 v[8:9], v[201:202], v[199:200]
	v_add_f64 v[22:23], v[34:35], v[54:55]
	v_add_f64 v[34:35], v[54:55], -v[34:35]
	v_add_f64 v[54:55], v[28:29], -v[26:27]
	v_add_f64 v[219:220], v[116:117], v[120:121]
	v_add_f64 v[205:206], v[203:204], v[8:9]
	s_waitcnt vmcnt(1) lgkmcnt(0)
	v_mul_f64 v[0:1], v[6:7], v[186:187]
	s_delay_alu instid0(VALU_DEP_1) | instskip(SKIP_1) | instid1(VALU_DEP_2)
	v_fma_f64 v[122:123], v[4:5], v[184:185], -v[0:1]
	v_mul_f64 v[0:1], v[4:5], v[186:187]
	v_add_f64 v[209:210], v[108:109], v[122:123]
	s_delay_alu instid0(VALU_DEP_2) | instskip(SKIP_4) | instid1(VALU_DEP_2)
	v_fma_f64 v[124:125], v[6:7], v[184:185], v[0:1]
	ds_load_b128 v[0:3], v134 offset:17600
	s_waitcnt vmcnt(0) lgkmcnt(0)
	v_mul_f64 v[4:5], v[2:3], v[190:191]
	v_add_f64 v[217:218], v[110:111], v[124:125]
	v_fma_f64 v[126:127], v[0:1], v[188:189], -v[4:5]
	v_mul_f64 v[0:1], v[0:1], v[190:191]
	s_delay_alu instid0(VALU_DEP_2) | instskip(NEXT) | instid1(VALU_DEP_2)
	v_add_f64 v[207:208], v[104:105], v[126:127]
	v_fma_f64 v[128:129], v[2:3], v[188:189], v[0:1]
	v_add_f64 v[0:1], v[18:19], v[20:21]
	v_add_f64 v[20:21], v[20:21], -v[22:23]
	s_delay_alu instid0(VALU_DEP_4) | instskip(NEXT) | instid1(VALU_DEP_4)
	v_add_f64 v[8:9], v[209:210], v[207:208]
	v_add_f64 v[215:216], v[106:107], v[128:129]
	s_delay_alu instid0(VALU_DEP_4) | instskip(SKIP_4) | instid1(VALU_DEP_4)
	v_add_f64 v[24:25], v[22:23], v[0:1]
	v_add_f64 v[0:1], v[28:29], v[26:27]
	v_add_f64 v[28:29], v[30:31], -v[28:29]
	v_add_f64 v[213:214], v[211:212], v[8:9]
	v_add_f64 v[8:9], v[217:218], v[215:216]
	;; [unrolled: 1-line block ×3, first 2 shown]
	ds_load_b128 v[0:3], v134
	ds_load_b128 v[4:7], v134 offset:880
	s_waitcnt lgkmcnt(0)
	s_waitcnt_vscnt null, 0x0
	s_barrier
	buffer_gl0_inv
	v_add_f64 v[0:1], v[0:1], v[24:25]
	v_add_f64 v[6:7], v[6:7], v[205:206]
	;; [unrolled: 1-line block ×5, first 2 shown]
	v_add_f64 v[14:15], v[52:53], -v[58:59]
	v_add_f64 v[52:53], v[22:23], -v[18:19]
	;; [unrolled: 1-line block ×4, first 2 shown]
	v_add_f64 v[2:3], v[2:3], v[32:33]
	v_add_f64 v[30:31], v[42:43], -v[34:35]
	v_fma_f64 v[227:228], v[24:25], s[22:23], v[0:1]
	v_add_f64 v[10:11], v[16:17], v[221:222]
	v_add_f64 v[16:17], v[34:35], v[12:13]
	;; [unrolled: 1-line block ×3, first 2 shown]
	v_add_f64 v[58:59], v[40:41], -v[14:15]
	v_mul_f64 v[225:226], v[18:19], s[28:29]
	v_add_f64 v[60:61], v[14:15], -v[44:45]
	v_add_f64 v[34:35], v[44:45], -v[40:41]
	v_mul_f64 v[40:41], v[20:21], s[18:19]
	v_mul_f64 v[14:15], v[28:29], s[8:9]
	v_fma_f64 v[32:33], v[32:33], s[22:23], v[2:3]
	v_add_f64 v[62:63], v[16:17], v[42:43]
	v_add_f64 v[223:224], v[12:13], v[44:45]
	v_mul_f64 v[58:59], v[58:59], s[28:29]
	v_mul_f64 v[12:13], v[52:53], s[8:9]
	v_fma_f64 v[16:17], v[56:57], s[14:15], -v[225:226]
	v_mul_f64 v[26:27], v[60:61], s[14:15]
	v_mul_f64 v[42:43], v[22:23], s[18:19]
	v_fma_f64 v[14:15], v[54:55], s[24:25], -v[14:15]
	v_fma_f64 v[12:13], v[50:51], s[24:25], -v[12:13]
	v_fma_f64 v[18:19], v[62:63], s[12:13], v[16:17]
	v_fma_f64 v[16:17], v[60:61], s[14:15], -v[58:59]
	v_fma_f64 v[22:23], v[34:35], s[26:27], -v[26:27]
	;; [unrolled: 1-line block ×3, first 2 shown]
	v_fma_f64 v[34:35], v[34:35], s[16:17], v[58:59]
	v_fma_f64 v[28:29], v[28:29], s[8:9], v[42:43]
	v_add_f64 v[229:230], v[14:15], v[32:33]
	v_add_f64 v[54:55], v[94:95], -v[90:91]
	v_add_f64 v[58:59], v[46:47], -v[130:131]
	;; [unrolled: 1-line block ×3, first 2 shown]
	v_fma_f64 v[94:95], v[197:198], s[22:23], v[4:5]
	v_add_f64 v[24:25], v[12:13], v[227:228]
	v_fma_f64 v[16:17], v[223:224], s[12:13], v[16:17]
	v_add_f64 v[26:27], v[26:27], v[32:33]
	;; [unrolled: 2-line block ×3, first 2 shown]
	v_add_f64 v[18:19], v[229:230], -v[18:19]
	v_add_f64 v[12:13], v[24:25], -v[16:17]
	v_add_f64 v[16:17], v[16:17], v[24:25]
	v_mul_f64 v[24:25], v[56:57], s[14:15]
	v_add_f64 v[56:57], v[66:67], -v[102:103]
	s_delay_alu instid0(VALU_DEP_2)
	v_fma_f64 v[20:21], v[30:31], s[26:27], -v[24:25]
	v_fma_f64 v[24:25], v[50:51], s[20:21], -v[40:41]
	v_fma_f64 v[40:41], v[52:53], s[8:9], v[40:41]
	v_fma_f64 v[50:51], v[223:224], s[12:13], v[22:23]
	;; [unrolled: 1-line block ×3, first 2 shown]
	v_add_f64 v[52:53], v[64:65], -v[100:101]
	v_add_f64 v[64:65], v[203:204], -v[201:202]
	v_fma_f64 v[44:45], v[62:63], s[12:13], v[20:21]
	v_add_f64 v[24:25], v[24:25], v[227:228]
	v_add_f64 v[40:41], v[40:41], v[227:228]
	v_fma_f64 v[42:43], v[62:63], s[12:13], v[30:31]
	v_add_f64 v[62:63], v[201:202], -v[199:200]
	v_add_f64 v[22:23], v[26:27], -v[44:45]
	v_add_f64 v[20:21], v[50:51], v[24:25]
	v_add_f64 v[24:25], v[24:25], -v[50:51]
	v_add_f64 v[26:27], v[44:45], v[26:27]
	v_add_f64 v[44:45], v[28:29], v[32:33]
	;; [unrolled: 1-line block ×3, first 2 shown]
	v_add_f64 v[32:33], v[40:41], -v[34:35]
	v_add_f64 v[40:41], v[68:69], -v[96:97]
	;; [unrolled: 1-line block ×3, first 2 shown]
	v_fma_f64 v[96:97], v[205:206], s[22:23], v[6:7]
	v_add_f64 v[30:31], v[44:45], -v[42:43]
	v_add_f64 v[34:35], v[42:43], v[44:45]
	v_add_f64 v[42:43], v[70:71], -v[98:99]
	v_add_f64 v[66:67], v[40:41], -v[52:53]
	;; [unrolled: 1-line block ×3, first 2 shown]
	v_add_f64 v[44:45], v[50:51], v[40:41]
	v_add_f64 v[102:103], v[52:53], -v[50:51]
	v_add_f64 v[40:41], v[54:55], v[42:43]
	v_add_f64 v[68:69], v[54:55], -v[42:43]
	v_add_f64 v[70:71], v[42:43], -v[56:57]
	v_mul_f64 v[92:93], v[46:47], s[28:29]
	v_mul_f64 v[42:43], v[64:65], s[8:9]
	v_add_f64 v[88:89], v[44:45], v[52:53]
	v_mul_f64 v[50:51], v[66:67], s[14:15]
	v_add_f64 v[90:91], v[40:41], v[56:57]
	v_mul_f64 v[68:69], v[68:69], s[28:29]
	v_mul_f64 v[40:41], v[60:61], s[8:9]
	v_fma_f64 v[44:45], v[66:67], s[14:15], -v[92:93]
	v_fma_f64 v[42:43], v[62:63], s[24:25], -v[42:43]
	v_mul_f64 v[52:53], v[70:71], s[14:15]
	v_fma_f64 v[50:51], v[102:103], s[26:27], -v[50:51]
	v_fma_f64 v[40:41], v[58:59], s[24:25], -v[40:41]
	v_fma_f64 v[46:47], v[88:89], s[12:13], v[44:45]
	v_fma_f64 v[44:45], v[70:71], s[14:15], -v[68:69]
	v_add_f64 v[100:101], v[42:43], v[96:97]
	s_delay_alu instid0(VALU_DEP_4) | instskip(NEXT) | instid1(VALU_DEP_3)
	v_add_f64 v[98:99], v[40:41], v[94:95]
	v_fma_f64 v[44:45], v[90:91], s[12:13], v[44:45]
	s_delay_alu instid0(VALU_DEP_3) | instskip(SKIP_2) | instid1(VALU_DEP_4)
	v_add_f64 v[42:43], v[46:47], v[100:101]
	v_add_f64 v[46:47], v[100:101], -v[46:47]
	v_add_f64 v[100:101], v[199:200], -v[203:204]
	;; [unrolled: 1-line block ×3, first 2 shown]
	v_add_f64 v[44:45], v[44:45], v[98:99]
	v_add_f64 v[98:99], v[130:131], -v[132:133]
	s_delay_alu instid0(VALU_DEP_4) | instskip(SKIP_2) | instid1(VALU_DEP_4)
	v_mul_f64 v[70:71], v[100:101], s[18:19]
	v_add_f64 v[130:131], v[56:57], -v[54:55]
	v_add_f64 v[100:101], v[211:212], -v[209:210]
	v_mul_f64 v[66:67], v[98:99], s[18:19]
	s_delay_alu instid0(VALU_DEP_4) | instskip(NEXT) | instid1(VALU_DEP_4)
	v_fma_f64 v[56:57], v[62:63], s[20:21], -v[70:71]
	v_fma_f64 v[52:53], v[130:131], s[26:27], -v[52:53]
	v_fma_f64 v[64:65], v[64:65], s[8:9], v[70:71]
	v_add_f64 v[70:71], v[118:119], -v[114:115]
	v_add_f64 v[98:99], v[209:210], -v[207:208]
	v_fma_f64 v[54:55], v[58:59], s[20:21], -v[66:67]
	v_fma_f64 v[58:59], v[88:89], s[12:13], v[50:51]
	v_add_f64 v[56:57], v[56:57], v[96:97]
	v_fma_f64 v[62:63], v[90:91], s[12:13], v[52:53]
	v_fma_f64 v[60:61], v[60:61], s[8:9], v[66:67]
	v_add_f64 v[64:65], v[64:65], v[96:97]
	v_add_f64 v[96:97], v[106:107], -v[128:129]
	v_add_f64 v[54:55], v[54:55], v[94:95]
	v_add_f64 v[52:53], v[56:57], -v[58:59]
	v_add_f64 v[56:57], v[58:59], v[56:57]
	v_fma_f64 v[58:59], v[102:103], s[16:17], v[92:93]
	v_add_f64 v[92:93], v[104:105], -v[126:127]
	v_add_f64 v[104:105], v[219:220], -v[217:218]
	;; [unrolled: 1-line block ×3, first 2 shown]
	v_add_f64 v[50:51], v[62:63], v[54:55]
	v_add_f64 v[54:55], v[54:55], -v[62:63]
	v_fma_f64 v[62:63], v[130:131], s[16:17], v[68:69]
	v_add_f64 v[68:69], v[60:61], v[94:95]
	v_fma_f64 v[66:67], v[88:89], s[12:13], v[58:59]
	v_add_f64 v[94:95], v[120:121], -v[116:117]
	v_fma_f64 v[120:121], v[213:214], s[22:23], v[8:9]
	v_fma_f64 v[62:63], v[90:91], s[12:13], v[62:63]
	s_delay_alu instid0(VALU_DEP_4)
	v_add_f64 v[60:61], v[64:65], -v[66:67]
	v_add_f64 v[64:65], v[66:67], v[64:65]
	v_add_f64 v[66:67], v[108:109], -v[122:123]
	v_fma_f64 v[122:123], v[221:222], s[22:23], v[10:11]
	v_add_f64 v[128:129], v[96:97], -v[94:95]
	v_add_f64 v[58:59], v[62:63], v[68:69]
	v_add_f64 v[62:63], v[68:69], -v[62:63]
	v_add_f64 v[68:69], v[110:111], -v[124:125]
	ds_store_b128 v134, v[0:3]
	ds_store_b128 v134, v[28:31] offset:880
	ds_store_b128 v134, v[20:23] offset:1760
	;; [unrolled: 1-line block ×13, first 2 shown]
	v_add_f64 v[90:91], v[70:71], -v[66:67]
	v_add_f64 v[88:89], v[70:71], v[66:67]
	v_add_f64 v[106:107], v[66:67], -v[92:93]
	v_add_f64 v[70:71], v[92:93], -v[70:71]
	v_lshlrev_b32_e32 v4, 5, v231
	v_lshlrev_b32_e32 v0, 4, v136
	v_add_f64 v[66:67], v[94:95], v[68:69]
	v_add_f64 v[108:109], v[94:95], -v[68:69]
	v_add_f64 v[110:111], v[68:69], -v[96:97]
	v_mul_f64 v[68:69], v[104:105], s[8:9]
	v_add_co_u32 v2, s1, s2, v4
	s_delay_alu instid0(VALU_DEP_1)
	v_add_co_ci_u32_e64 v3, null, s3, 0, s1
	v_mul_f64 v[118:119], v[90:91], s[28:29]
	v_add_f64 v[114:115], v[88:89], v[92:93]
	v_mul_f64 v[92:93], v[106:107], s[14:15]
	v_add_f64 v[116:117], v[66:67], v[96:97]
	v_mul_f64 v[108:109], v[108:109], s[28:29]
	v_mul_f64 v[66:67], v[100:101], s[8:9]
	v_fma_f64 v[68:69], v[102:103], s[24:25], -v[68:69]
	v_mul_f64 v[94:95], v[110:111], s[14:15]
	v_fma_f64 v[88:89], v[106:107], s[14:15], -v[118:119]
	v_fma_f64 v[92:93], v[70:71], s[26:27], -v[92:93]
	v_fma_f64 v[70:71], v[70:71], s[16:17], v[118:119]
	v_fma_f64 v[66:67], v[98:99], s[24:25], -v[66:67]
	v_add_f64 v[126:127], v[68:69], v[122:123]
	v_fma_f64 v[94:95], v[128:129], s[26:27], -v[94:95]
	v_fma_f64 v[90:91], v[114:115], s[12:13], v[88:89]
	v_fma_f64 v[88:89], v[110:111], s[14:15], -v[108:109]
	v_fma_f64 v[70:71], v[114:115], s[12:13], v[70:71]
	v_add_f64 v[124:125], v[66:67], v[120:121]
	s_delay_alu instid0(VALU_DEP_4) | instskip(NEXT) | instid1(VALU_DEP_4)
	v_add_f64 v[68:69], v[90:91], v[126:127]
	v_fma_f64 v[88:89], v[116:117], s[12:13], v[88:89]
	v_add_f64 v[90:91], v[126:127], -v[90:91]
	v_add_f64 v[126:127], v[215:216], -v[219:220]
	s_delay_alu instid0(VALU_DEP_3) | instskip(SKIP_2) | instid1(VALU_DEP_4)
	v_add_f64 v[66:67], v[124:125], -v[88:89]
	v_add_f64 v[88:89], v[88:89], v[124:125]
	v_add_f64 v[124:125], v[207:208], -v[211:212]
	v_mul_f64 v[110:111], v[126:127], s[18:19]
	s_delay_alu instid0(VALU_DEP_2) | instskip(SKIP_1) | instid1(VALU_DEP_3)
	v_mul_f64 v[106:107], v[124:125], s[18:19]
	v_fma_f64 v[124:125], v[116:117], s[12:13], v[94:95]
	v_fma_f64 v[104:105], v[104:105], s[8:9], v[110:111]
	s_delay_alu instid0(VALU_DEP_3)
	v_fma_f64 v[96:97], v[98:99], s[20:21], -v[106:107]
	v_fma_f64 v[98:99], v[102:103], s[20:21], -v[110:111]
	v_fma_f64 v[102:103], v[114:115], s[12:13], v[92:93]
	v_fma_f64 v[100:101], v[100:101], s[8:9], v[106:107]
	v_add_f64 v[110:111], v[104:105], v[122:123]
	s_mov_b32 s9, 0xbfebb67a
	v_add_f64 v[96:97], v[96:97], v[120:121]
	v_add_f64 v[98:99], v[98:99], v[122:123]
	s_delay_alu instid0(VALU_DEP_2) | instskip(NEXT) | instid1(VALU_DEP_2)
	v_add_f64 v[92:93], v[124:125], v[96:97]
	v_add_f64 v[94:95], v[98:99], -v[102:103]
	v_add_f64 v[98:99], v[102:103], v[98:99]
	v_fma_f64 v[102:103], v[128:129], s[16:17], v[108:109]
	v_add_f64 v[108:109], v[100:101], v[120:121]
	v_add_f64 v[96:97], v[96:97], -v[124:125]
	s_delay_alu instid0(VALU_DEP_3) | instskip(SKIP_1) | instid1(VALU_DEP_2)
	v_fma_f64 v[106:107], v[116:117], s[12:13], v[102:103]
	v_add_f64 v[102:103], v[110:111], -v[70:71]
	v_add_f64 v[100:101], v[106:107], v[108:109]
	v_add_f64 v[104:105], v[108:109], -v[106:107]
	v_add_f64 v[106:107], v[70:71], v[110:111]
	ds_store_b128 v0, v[8:11] offset:12320
	ds_store_b128 v0, v[100:103] offset:13200
	;; [unrolled: 1-line block ×6, first 2 shown]
	s_clause 0x1
	scratch_store_b32 off, v231, off offset:300
	scratch_store_b32 off, v0, off offset:312
	ds_store_b128 v0, v[104:107] offset:17600
	v_add_co_u32 v0, s1, 0x1000, v2
	s_delay_alu instid0(VALU_DEP_1) | instskip(SKIP_1) | instid1(VALU_DEP_1)
	v_add_co_ci_u32_e64 v1, s1, 0, v3, s1
	v_add_co_u32 v2, s1, 0x1760, v2
	v_add_co_ci_u32_e64 v3, s1, 0, v3, s1
	s_waitcnt lgkmcnt(0)
	s_waitcnt_vscnt null, 0x0
	s_barrier
	buffer_gl0_inv
	s_clause 0x1
	global_load_b128 v[7:10], v[0:1], off offset:1888
	global_load_b128 v[19:22], v[2:3], off offset:16
	ds_load_b128 v[0:3], v134 offset:6160
	ds_load_b128 v[28:31], v134 offset:5280
	s_waitcnt vmcnt(1) lgkmcnt(1)
	v_mul_f64 v[5:6], v[2:3], v[9:10]
	scratch_store_b128 off, v[7:10], off offset:268 ; 16-byte Folded Spill
	v_fma_f64 v[13:14], v[0:1], v[7:8], -v[5:6]
	v_mul_f64 v[0:1], v[0:1], v[9:10]
	s_delay_alu instid0(VALU_DEP_1)
	v_fma_f64 v[15:16], v[2:3], v[7:8], v[0:1]
	ds_load_b128 v[0:3], v134 offset:12320
	ds_load_b128 v[5:8], v134 offset:13200
	s_waitcnt vmcnt(0)
	scratch_store_b128 off, v[19:22], off offset:284 ; 16-byte Folded Spill
	s_waitcnt lgkmcnt(1)
	v_mul_f64 v[9:10], v[2:3], v[21:22]
	s_delay_alu instid0(VALU_DEP_1) | instskip(SKIP_1) | instid1(VALU_DEP_1)
	v_fma_f64 v[17:18], v[0:1], v[19:20], -v[9:10]
	v_mul_f64 v[0:1], v[0:1], v[21:22]
	v_fma_f64 v[19:20], v[2:3], v[19:20], v[0:1]
	v_lshlrev_b32_e32 v0, 5, v196
	s_delay_alu instid0(VALU_DEP_1) | instskip(NEXT) | instid1(VALU_DEP_1)
	v_add_co_u32 v2, s1, s2, v0
	v_add_co_ci_u32_e64 v3, null, s3, 0, s1
	s_delay_alu instid0(VALU_DEP_2) | instskip(NEXT) | instid1(VALU_DEP_1)
	v_add_co_u32 v0, s1, 0x1000, v2
	v_add_co_ci_u32_e64 v1, s1, 0, v3, s1
	v_add_co_u32 v2, s1, 0x1760, v2
	s_delay_alu instid0(VALU_DEP_1)
	v_add_co_ci_u32_e64 v3, s1, 0, v3, s1
	s_clause 0x1
	global_load_b128 v[196:199], v[0:1], off offset:1888
	global_load_b128 v[200:203], v[2:3], off offset:16
	ds_load_b128 v[0:3], v134 offset:7040
	ds_load_b128 v[9:12], v134 offset:7920
	s_waitcnt vmcnt(1) lgkmcnt(1)
	v_mul_f64 v[21:22], v[2:3], v[198:199]
	s_delay_alu instid0(VALU_DEP_1) | instskip(SKIP_1) | instid1(VALU_DEP_1)
	v_fma_f64 v[21:22], v[0:1], v[196:197], -v[21:22]
	v_mul_f64 v[0:1], v[0:1], v[198:199]
	v_fma_f64 v[23:24], v[2:3], v[196:197], v[0:1]
	s_waitcnt vmcnt(0)
	v_mul_f64 v[0:1], v[7:8], v[202:203]
	s_delay_alu instid0(VALU_DEP_1) | instskip(SKIP_1) | instid1(VALU_DEP_1)
	v_fma_f64 v[25:26], v[5:6], v[200:201], -v[0:1]
	v_mul_f64 v[0:1], v[5:6], v[202:203]
	v_fma_f64 v[44:45], v[7:8], v[200:201], v[0:1]
	v_lshlrev_b64 v[0:1], 5, v[36:37]
	s_delay_alu instid0(VALU_DEP_1) | instskip(NEXT) | instid1(VALU_DEP_1)
	v_add_co_u32 v2, s1, s2, v0
	v_add_co_ci_u32_e64 v3, s1, s3, v1, s1
	s_delay_alu instid0(VALU_DEP_2) | instskip(NEXT) | instid1(VALU_DEP_1)
	v_add_co_u32 v0, s1, 0x1000, v2
	v_add_co_ci_u32_e64 v1, s1, 0, v3, s1
	v_add_co_u32 v2, s1, 0x1760, v2
	s_delay_alu instid0(VALU_DEP_1)
	v_add_co_ci_u32_e64 v3, s1, 0, v3, s1
	s_clause 0x1
	global_load_b128 v[204:207], v[0:1], off offset:1888
	global_load_b128 v[208:211], v[2:3], off offset:16
	s_waitcnt vmcnt(1) lgkmcnt(0)
	v_mul_f64 v[0:1], v[11:12], v[206:207]
	s_delay_alu instid0(VALU_DEP_1) | instskip(SKIP_1) | instid1(VALU_DEP_1)
	v_fma_f64 v[60:61], v[9:10], v[204:205], -v[0:1]
	v_mul_f64 v[0:1], v[9:10], v[206:207]
	v_fma_f64 v[56:57], v[11:12], v[204:205], v[0:1]
	ds_load_b128 v[0:3], v134 offset:14080
	ds_load_b128 v[5:8], v134 offset:14960
	s_waitcnt vmcnt(0) lgkmcnt(1)
	v_mul_f64 v[9:10], v[2:3], v[210:211]
	s_delay_alu instid0(VALU_DEP_1) | instskip(SKIP_1) | instid1(VALU_DEP_1)
	v_fma_f64 v[62:63], v[0:1], v[208:209], -v[9:10]
	v_mul_f64 v[0:1], v[0:1], v[210:211]
	v_fma_f64 v[58:59], v[2:3], v[208:209], v[0:1]
	v_lshlrev_b64 v[0:1], 5, v[38:39]
	s_delay_alu instid0(VALU_DEP_1) | instskip(NEXT) | instid1(VALU_DEP_1)
	v_add_co_u32 v2, s1, s2, v0
	v_add_co_ci_u32_e64 v3, s1, s3, v1, s1
	s_delay_alu instid0(VALU_DEP_2) | instskip(NEXT) | instid1(VALU_DEP_1)
	v_add_co_u32 v0, s1, 0x1000, v2
	v_add_co_ci_u32_e64 v1, s1, 0, v3, s1
	v_add_co_u32 v2, s1, 0x1760, v2
	s_delay_alu instid0(VALU_DEP_1)
	v_add_co_ci_u32_e64 v3, s1, 0, v3, s1
	s_clause 0x1
	global_load_b128 v[212:215], v[0:1], off offset:1888
	global_load_b128 v[216:219], v[2:3], off offset:16
	ds_load_b128 v[0:3], v134 offset:8800
	ds_load_b128 v[9:12], v134 offset:9680
	s_waitcnt vmcnt(1) lgkmcnt(1)
	v_mul_f64 v[32:33], v[2:3], v[214:215]
	s_delay_alu instid0(VALU_DEP_1) | instskip(SKIP_1) | instid1(VALU_DEP_1)
	v_fma_f64 v[88:89], v[0:1], v[212:213], -v[32:33]
	v_mul_f64 v[0:1], v[0:1], v[214:215]
	v_fma_f64 v[68:69], v[2:3], v[212:213], v[0:1]
	s_waitcnt vmcnt(0)
	v_mul_f64 v[0:1], v[7:8], v[218:219]
	s_delay_alu instid0(VALU_DEP_1) | instskip(SKIP_1) | instid1(VALU_DEP_1)
	v_fma_f64 v[90:91], v[5:6], v[216:217], -v[0:1]
	v_mul_f64 v[0:1], v[5:6], v[218:219]
	v_fma_f64 v[70:71], v[7:8], v[216:217], v[0:1]
	v_lshlrev_b64 v[0:1], 5, v[48:49]
	s_delay_alu instid0(VALU_DEP_1) | instskip(NEXT) | instid1(VALU_DEP_1)
	v_add_co_u32 v2, s1, s2, v0
	v_add_co_ci_u32_e64 v3, s1, s3, v1, s1
	s_delay_alu instid0(VALU_DEP_2) | instskip(NEXT) | instid1(VALU_DEP_1)
	v_add_co_u32 v0, s1, 0x1000, v2
	v_add_co_ci_u32_e64 v1, s1, 0, v3, s1
	v_add_co_u32 v2, s1, 0x1760, v2
	s_delay_alu instid0(VALU_DEP_1)
	v_add_co_ci_u32_e64 v3, s1, 0, v3, s1
	s_clause 0x1
	global_load_b128 v[220:223], v[0:1], off offset:1888
	global_load_b128 v[224:227], v[2:3], off offset:16
	s_waitcnt vmcnt(1) lgkmcnt(0)
	v_mul_f64 v[0:1], v[11:12], v[222:223]
	s_delay_alu instid0(VALU_DEP_1) | instskip(SKIP_1) | instid1(VALU_DEP_1)
	v_fma_f64 v[92:93], v[9:10], v[220:221], -v[0:1]
	v_mul_f64 v[0:1], v[9:10], v[222:223]
	v_fma_f64 v[94:95], v[11:12], v[220:221], v[0:1]
	ds_load_b128 v[0:3], v134 offset:15840
	ds_load_b128 v[5:8], v134 offset:16720
	s_waitcnt vmcnt(0) lgkmcnt(1)
	v_mul_f64 v[9:10], v[2:3], v[226:227]
	s_delay_alu instid0(VALU_DEP_1) | instskip(SKIP_1) | instid1(VALU_DEP_1)
	v_fma_f64 v[96:97], v[0:1], v[224:225], -v[9:10]
	v_mul_f64 v[0:1], v[0:1], v[226:227]
	v_fma_f64 v[98:99], v[2:3], v[224:225], v[0:1]
	v_add_nc_u32_e32 v0, 0x2260, v4
	s_delay_alu instid0(VALU_DEP_1) | instskip(NEXT) | instid1(VALU_DEP_1)
	v_add_co_u32 v2, s1, s2, v0
	v_add_co_ci_u32_e64 v3, null, s3, 0, s1
	s_delay_alu instid0(VALU_DEP_2) | instskip(NEXT) | instid1(VALU_DEP_1)
	v_add_co_u32 v0, s1, 0x1000, v2
	v_add_co_ci_u32_e64 v1, s1, 0, v3, s1
	v_add_co_u32 v2, s1, 0x1760, v2
	s_delay_alu instid0(VALU_DEP_1)
	v_add_co_ci_u32_e64 v3, s1, 0, v3, s1
	s_clause 0x1
	global_load_b128 v[228:231], v[0:1], off offset:1888
	global_load_b128 v[232:235], v[2:3], off offset:16
	ds_load_b128 v[0:3], v134 offset:10560
	ds_load_b128 v[9:12], v134 offset:11440
	s_waitcnt vmcnt(1) lgkmcnt(1)
	v_mul_f64 v[32:33], v[2:3], v[230:231]
	s_delay_alu instid0(VALU_DEP_1) | instskip(SKIP_1) | instid1(VALU_DEP_1)
	v_fma_f64 v[100:101], v[0:1], v[228:229], -v[32:33]
	v_mul_f64 v[0:1], v[0:1], v[230:231]
	v_fma_f64 v[102:103], v[2:3], v[228:229], v[0:1]
	s_waitcnt vmcnt(0)
	v_mul_f64 v[0:1], v[7:8], v[234:235]
	s_delay_alu instid0(VALU_DEP_1) | instskip(SKIP_1) | instid1(VALU_DEP_1)
	v_fma_f64 v[104:105], v[5:6], v[232:233], -v[0:1]
	v_mul_f64 v[0:1], v[5:6], v[234:235]
	v_fma_f64 v[106:107], v[7:8], v[232:233], v[0:1]
	v_add_nc_u32_e32 v0, 0x2940, v4
	s_delay_alu instid0(VALU_DEP_1) | instskip(NEXT) | instid1(VALU_DEP_1)
	v_add_co_u32 v2, s1, s2, v0
	v_add_co_ci_u32_e64 v3, null, s3, 0, s1
	s_mov_b32 s2, 0xe8584caa
	s_delay_alu instid0(VALU_DEP_2) | instskip(NEXT) | instid1(VALU_DEP_1)
	v_add_co_u32 v0, s1, 0x1000, v2
	v_add_co_ci_u32_e64 v1, s1, 0, v3, s1
	v_add_co_u32 v2, s1, 0x1760, v2
	s_delay_alu instid0(VALU_DEP_1)
	v_add_co_ci_u32_e64 v3, s1, 0, v3, s1
	s_clause 0x1
	global_load_b128 v[236:239], v[0:1], off offset:1888
	global_load_b128 v[240:243], v[2:3], off offset:16
	s_mov_b32 s3, 0x3febb67a
	s_mov_b32 s8, s2
	s_waitcnt vmcnt(1) lgkmcnt(0)
	v_mul_f64 v[0:1], v[11:12], v[238:239]
	s_delay_alu instid0(VALU_DEP_1) | instskip(SKIP_2) | instid1(VALU_DEP_2)
	v_fma_f64 v[108:109], v[9:10], v[236:237], -v[0:1]
	v_mul_f64 v[0:1], v[9:10], v[238:239]
	v_add_f64 v[8:9], v[13:14], v[17:18]
	v_fma_f64 v[110:111], v[11:12], v[236:237], v[0:1]
	ds_load_b128 v[0:3], v134 offset:17600
	v_add_f64 v[10:11], v[15:16], v[19:20]
	s_waitcnt vmcnt(0) lgkmcnt(0)
	v_mul_f64 v[4:5], v[2:3], v[242:243]
	s_delay_alu instid0(VALU_DEP_1) | instskip(SKIP_1) | instid1(VALU_DEP_1)
	v_fma_f64 v[114:115], v[0:1], v[240:241], -v[4:5]
	v_mul_f64 v[0:1], v[0:1], v[242:243]
	v_fma_f64 v[116:117], v[2:3], v[240:241], v[0:1]
	ds_load_b128 v[0:3], v134
	ds_load_b128 v[4:7], v134 offset:880
	s_waitcnt lgkmcnt(1)
	v_fma_f64 v[8:9], v[8:9], -0.5, v[0:1]
	v_add_f64 v[0:1], v[0:1], v[13:14]
	v_fma_f64 v[10:11], v[10:11], -0.5, v[2:3]
	v_add_f64 v[2:3], v[2:3], v[15:16]
	v_add_f64 v[15:16], v[15:16], -v[19:20]
	s_delay_alu instid0(VALU_DEP_4) | instskip(SKIP_1) | instid1(VALU_DEP_4)
	v_add_f64 v[32:33], v[0:1], v[17:18]
	v_add_f64 v[0:1], v[13:14], -v[17:18]
	v_add_f64 v[34:35], v[2:3], v[19:20]
	v_add_f64 v[2:3], v[23:24], v[44:45]
	v_fma_f64 v[36:37], v[15:16], s[2:3], v[8:9]
	v_fma_f64 v[40:41], v[15:16], s[8:9], v[8:9]
	v_add_f64 v[8:9], v[23:24], -v[44:45]
	v_add_f64 v[12:13], v[56:57], -v[58:59]
	;; [unrolled: 1-line block ×3, first 2 shown]
	v_fma_f64 v[38:39], v[0:1], s[8:9], v[10:11]
	v_fma_f64 v[42:43], v[0:1], s[2:3], v[10:11]
	v_add_f64 v[0:1], v[21:22], v[25:26]
	s_waitcnt lgkmcnt(0)
	v_fma_f64 v[2:3], v[2:3], -0.5, v[6:7]
	v_add_f64 v[6:7], v[6:7], v[23:24]
	v_add_f64 v[10:11], v[56:57], v[58:59]
	s_delay_alu instid0(VALU_DEP_4) | instskip(SKIP_1) | instid1(VALU_DEP_4)
	v_fma_f64 v[0:1], v[0:1], -0.5, v[4:5]
	v_add_f64 v[4:5], v[4:5], v[21:22]
	v_add_f64 v[46:47], v[6:7], v[44:45]
	s_delay_alu instid0(VALU_DEP_3) | instskip(NEXT) | instid1(VALU_DEP_3)
	v_fma_f64 v[48:49], v[8:9], s[2:3], v[0:1]
	v_add_f64 v[44:45], v[4:5], v[25:26]
	v_add_f64 v[4:5], v[21:22], -v[25:26]
	v_fma_f64 v[52:53], v[8:9], s[8:9], v[0:1]
	v_add_f64 v[8:9], v[60:61], v[62:63]
	s_delay_alu instid0(VALU_DEP_3)
	v_fma_f64 v[50:51], v[4:5], s[8:9], v[2:3]
	v_fma_f64 v[54:55], v[4:5], s[2:3], v[2:3]
	ds_load_b128 v[0:3], v134 offset:1760
	ds_load_b128 v[4:7], v134 offset:2640
	s_waitcnt lgkmcnt(1)
	v_fma_f64 v[8:9], v[8:9], -0.5, v[0:1]
	v_add_f64 v[0:1], v[0:1], v[60:61]
	v_fma_f64 v[10:11], v[10:11], -0.5, v[2:3]
	v_add_f64 v[2:3], v[2:3], v[56:57]
	s_delay_alu instid0(VALU_DEP_4) | instskip(NEXT) | instid1(VALU_DEP_4)
	v_fma_f64 v[64:65], v[12:13], s[8:9], v[8:9]
	v_add_f64 v[56:57], v[0:1], v[62:63]
	v_add_f64 v[0:1], v[60:61], -v[62:63]
	s_delay_alu instid0(VALU_DEP_4)
	v_add_f64 v[58:59], v[2:3], v[58:59]
	v_add_f64 v[2:3], v[68:69], v[70:71]
	v_fma_f64 v[60:61], v[12:13], s[2:3], v[8:9]
	v_add_f64 v[8:9], v[68:69], -v[70:71]
	v_fma_f64 v[62:63], v[0:1], s[8:9], v[10:11]
	v_fma_f64 v[66:67], v[0:1], s[2:3], v[10:11]
	v_add_f64 v[0:1], v[88:89], v[90:91]
	s_waitcnt lgkmcnt(0)
	v_fma_f64 v[2:3], v[2:3], -0.5, v[6:7]
	v_add_f64 v[6:7], v[6:7], v[68:69]
	v_add_f64 v[10:11], v[94:95], v[98:99]
	s_delay_alu instid0(VALU_DEP_4) | instskip(SKIP_1) | instid1(VALU_DEP_4)
	v_fma_f64 v[0:1], v[0:1], -0.5, v[4:5]
	v_add_f64 v[4:5], v[4:5], v[88:89]
	v_add_f64 v[70:71], v[6:7], v[70:71]
	s_delay_alu instid0(VALU_DEP_3) | instskip(NEXT) | instid1(VALU_DEP_3)
	v_fma_f64 v[252:253], v[8:9], s[8:9], v[0:1]
	v_add_f64 v[68:69], v[4:5], v[90:91]
	v_add_f64 v[4:5], v[88:89], -v[90:91]
	v_fma_f64 v[88:89], v[8:9], s[2:3], v[0:1]
	v_add_f64 v[8:9], v[92:93], v[96:97]
	s_delay_alu instid0(VALU_DEP_3)
	v_fma_f64 v[90:91], v[4:5], s[8:9], v[2:3]
	v_fma_f64 v[254:255], v[4:5], s[2:3], v[2:3]
	ds_load_b128 v[0:3], v134 offset:3520
	ds_load_b128 v[4:7], v134 offset:4400
	s_waitcnt lgkmcnt(1)
	v_fma_f64 v[8:9], v[8:9], -0.5, v[0:1]
	v_add_f64 v[0:1], v[0:1], v[92:93]
	v_fma_f64 v[10:11], v[10:11], -0.5, v[2:3]
	v_add_f64 v[2:3], v[2:3], v[94:95]
	s_delay_alu instid0(VALU_DEP_4) | instskip(NEXT) | instid1(VALU_DEP_4)
	v_fma_f64 v[16:17], v[18:19], s[2:3], v[8:9]
	v_add_f64 v[12:13], v[0:1], v[96:97]
	v_add_f64 v[0:1], v[92:93], -v[96:97]
	v_fma_f64 v[20:21], v[18:19], s[8:9], v[8:9]
	v_add_f64 v[14:15], v[2:3], v[98:99]
	v_add_f64 v[2:3], v[102:103], v[106:107]
	s_delay_alu instid0(VALU_DEP_4)
	v_fma_f64 v[18:19], v[0:1], s[8:9], v[10:11]
	v_fma_f64 v[22:23], v[0:1], s[2:3], v[10:11]
	v_add_f64 v[0:1], v[100:101], v[104:105]
	v_add_f64 v[10:11], v[102:103], -v[106:107]
	s_waitcnt lgkmcnt(0)
	v_fma_f64 v[2:3], v[2:3], -0.5, v[6:7]
	v_add_f64 v[6:7], v[6:7], v[102:103]
	s_delay_alu instid0(VALU_DEP_4) | instskip(SKIP_1) | instid1(VALU_DEP_3)
	v_fma_f64 v[0:1], v[0:1], -0.5, v[4:5]
	v_add_f64 v[4:5], v[4:5], v[100:101]
	v_add_f64 v[26:27], v[6:7], v[106:107]
	v_add_f64 v[6:7], v[100:101], -v[104:105]
	s_delay_alu instid0(VALU_DEP_4) | instskip(NEXT) | instid1(VALU_DEP_4)
	v_fma_f64 v[8:9], v[10:11], s[2:3], v[0:1]
	v_add_f64 v[24:25], v[4:5], v[104:105]
	v_fma_f64 v[4:5], v[10:11], s[8:9], v[0:1]
	v_add_f64 v[0:1], v[108:109], v[114:115]
	v_fma_f64 v[10:11], v[6:7], s[8:9], v[2:3]
	v_fma_f64 v[6:7], v[6:7], s[2:3], v[2:3]
	s_delay_alu instid0(VALU_DEP_3) | instskip(SKIP_2) | instid1(VALU_DEP_2)
	v_fma_f64 v[92:93], v[0:1], -0.5, v[28:29]
	v_add_f64 v[0:1], v[110:111], v[116:117]
	v_add_f64 v[28:29], v[28:29], v[108:109]
	v_fma_f64 v[94:95], v[0:1], -0.5, v[30:31]
	v_add_f64 v[0:1], v[30:31], v[110:111]
	v_add_f64 v[30:31], v[110:111], -v[116:117]
	s_delay_alu instid0(VALU_DEP_2) | instskip(SKIP_2) | instid1(VALU_DEP_4)
	v_add_f64 v[2:3], v[0:1], v[116:117]
	v_add_f64 v[0:1], v[28:29], v[114:115]
	v_add_f64 v[28:29], v[108:109], -v[114:115]
	v_fma_f64 v[248:249], v[30:31], s[2:3], v[92:93]
	v_fma_f64 v[244:245], v[30:31], s[8:9], v[92:93]
	s_delay_alu instid0(VALU_DEP_3)
	v_fma_f64 v[250:251], v[28:29], s[8:9], v[94:95]
	v_fma_f64 v[246:247], v[28:29], s[2:3], v[94:95]
	ds_store_b128 v134, v[32:35]
	ds_store_b128 v134, v[44:47] offset:880
	ds_store_b128 v134, v[56:59] offset:1760
	ds_store_b128 v134, v[68:71] offset:2640
	ds_store_b128 v134, v[36:39] offset:6160
	ds_store_b128 v134, v[40:43] offset:12320
	ds_store_b128 v134, v[52:55] offset:13200
	ds_store_b128 v134, v[48:51] offset:7040
	ds_store_b128 v134, v[60:63] offset:7920
	ds_store_b128 v134, v[64:67] offset:14080
	ds_store_b128 v134, v[88:91] offset:8800
	ds_store_b128 v134, v[12:15] offset:3520
	ds_store_b128 v134, v[24:27] offset:4400
	ds_store_b128 v134, v[0:3] offset:5280
	ds_store_b128 v134, v[252:255] offset:14960
	ds_store_b128 v134, v[16:19] offset:9680
	ds_store_b128 v134, v[20:23] offset:15840
	ds_store_b128 v134, v[4:7] offset:16720
	ds_store_b128 v134, v[8:11] offset:10560
	ds_store_b128 v134, v[248:251] offset:11440
	ds_store_b128 v134, v[244:247] offset:17600
	s_waitcnt lgkmcnt(0)
	s_waitcnt_vscnt null, 0x0
	s_barrier
	buffer_gl0_inv
	scratch_load_b64 v[28:29], off, off     ; 8-byte Folded Reload
	s_waitcnt vmcnt(0)
	global_load_b128 v[28:31], v[28:29], off offset:2096
	ds_load_b128 v[32:35], v134
	ds_load_b128 v[36:39], v134 offset:1680
	s_waitcnt vmcnt(0) lgkmcnt(1)
	v_mul_f64 v[40:41], v[34:35], v[30:31]
	v_mul_f64 v[42:43], v[32:33], v[30:31]
	s_delay_alu instid0(VALU_DEP_2) | instskip(NEXT) | instid1(VALU_DEP_2)
	v_fma_f64 v[30:31], v[32:33], v[28:29], -v[40:41]
	v_fma_f64 v[32:33], v[34:35], v[28:29], v[42:43]
	v_add_co_u32 v28, s1, 0x4830, v112
	s_delay_alu instid0(VALU_DEP_1)
	v_add_co_ci_u32_e64 v29, s1, 0, v113, s1
	s_clause 0x1
	global_load_b128 v[40:43], v[28:29], off offset:1680
	global_load_b128 v[44:47], v[28:29], off offset:3360
	s_waitcnt vmcnt(1) lgkmcnt(0)
	v_mul_f64 v[34:35], v[38:39], v[42:43]
	v_mul_f64 v[42:43], v[36:37], v[42:43]
	s_delay_alu instid0(VALU_DEP_2) | instskip(NEXT) | instid1(VALU_DEP_2)
	v_fma_f64 v[34:35], v[36:37], v[40:41], -v[34:35]
	v_fma_f64 v[36:37], v[38:39], v[40:41], v[42:43]
	ds_load_b128 v[38:41], v134 offset:3360
	ds_load_b128 v[48:51], v134 offset:5040
	s_waitcnt vmcnt(0) lgkmcnt(1)
	v_mul_f64 v[42:43], v[40:41], v[46:47]
	v_mul_f64 v[46:47], v[38:39], v[46:47]
	s_delay_alu instid0(VALU_DEP_2) | instskip(SKIP_1) | instid1(VALU_DEP_1)
	v_fma_f64 v[38:39], v[38:39], v[44:45], -v[42:43]
	v_add_co_u32 v42, s1, 0x5000, v112
	v_add_co_ci_u32_e64 v43, s1, 0, v113, s1
	v_add_co_u32 v60, s1, 0x6000, v112
	s_delay_alu instid0(VALU_DEP_1)
	v_add_co_ci_u32_e64 v61, s1, 0, v113, s1
	v_fma_f64 v[40:41], v[40:41], v[44:45], v[46:47]
	s_clause 0x1
	global_load_b128 v[42:45], v[42:43], off offset:3040
	global_load_b128 v[52:55], v[60:61], off offset:624
	s_waitcnt vmcnt(1) lgkmcnt(0)
	v_mul_f64 v[46:47], v[50:51], v[44:45]
	v_mul_f64 v[56:57], v[48:49], v[44:45]
	s_delay_alu instid0(VALU_DEP_2) | instskip(NEXT) | instid1(VALU_DEP_2)
	v_fma_f64 v[44:45], v[48:49], v[42:43], -v[46:47]
	v_fma_f64 v[46:47], v[50:51], v[42:43], v[56:57]
	ds_load_b128 v[48:51], v134 offset:6720
	ds_load_b128 v[56:59], v134 offset:8400
	s_waitcnt vmcnt(0) lgkmcnt(1)
	v_mul_f64 v[42:43], v[50:51], v[54:55]
	v_mul_f64 v[54:55], v[48:49], v[54:55]
	s_delay_alu instid0(VALU_DEP_2) | instskip(NEXT) | instid1(VALU_DEP_2)
	v_fma_f64 v[48:49], v[48:49], v[52:53], -v[42:43]
	v_fma_f64 v[50:51], v[50:51], v[52:53], v[54:55]
	s_clause 0x1
	global_load_b128 v[52:55], v[60:61], off offset:2304
	global_load_b128 v[60:63], v[60:61], off offset:3984
	s_waitcnt vmcnt(1) lgkmcnt(0)
	v_mul_f64 v[42:43], v[58:59], v[54:55]
	v_mul_f64 v[64:65], v[56:57], v[54:55]
	s_delay_alu instid0(VALU_DEP_2) | instskip(NEXT) | instid1(VALU_DEP_2)
	v_fma_f64 v[54:55], v[56:57], v[52:53], -v[42:43]
	v_fma_f64 v[56:57], v[58:59], v[52:53], v[64:65]
	ds_load_b128 v[64:67], v134 offset:10080
	ds_load_b128 v[68:71], v134 offset:11760
	s_waitcnt vmcnt(0) lgkmcnt(1)
	v_mul_f64 v[42:43], v[66:67], v[62:63]
	v_mul_f64 v[52:53], v[64:65], v[62:63]
	s_delay_alu instid0(VALU_DEP_2) | instskip(SKIP_1) | instid1(VALU_DEP_1)
	v_fma_f64 v[58:59], v[64:65], v[60:61], -v[42:43]
	v_add_co_u32 v42, s1, 0x7000, v112
	v_add_co_ci_u32_e64 v43, s1, 0, v113, s1
	s_clause 0x1
	global_load_b128 v[62:65], v[42:43], off offset:1568
	global_load_b128 v[88:91], v[42:43], off offset:3248
	v_fma_f64 v[60:61], v[66:67], v[60:61], v[52:53]
	s_waitcnt vmcnt(1) lgkmcnt(0)
	v_mul_f64 v[42:43], v[70:71], v[64:65]
	v_mul_f64 v[52:53], v[68:69], v[64:65]
	s_delay_alu instid0(VALU_DEP_2) | instskip(NEXT) | instid1(VALU_DEP_2)
	v_fma_f64 v[64:65], v[68:69], v[62:63], -v[42:43]
	v_fma_f64 v[66:67], v[70:71], v[62:63], v[52:53]
	ds_load_b128 v[68:71], v134 offset:13440
	ds_load_b128 v[92:95], v134 offset:15120
	s_waitcnt vmcnt(0) lgkmcnt(1)
	v_mul_f64 v[42:43], v[70:71], v[90:91]
	v_mul_f64 v[52:53], v[68:69], v[90:91]
	s_delay_alu instid0(VALU_DEP_2) | instskip(SKIP_1) | instid1(VALU_DEP_1)
	v_fma_f64 v[68:69], v[68:69], v[88:89], -v[42:43]
	v_add_co_u32 v42, s1, 0x8000, v112
	v_add_co_ci_u32_e64 v43, s1, 0, v113, s1
	s_delay_alu instid0(VALU_DEP_4)
	v_fma_f64 v[70:71], v[70:71], v[88:89], v[52:53]
	s_clause 0x1
	global_load_b128 v[88:91], v[42:43], off offset:832
	global_load_b128 v[96:99], v[42:43], off offset:2512
	ds_load_b128 v[100:103], v134 offset:16800
	s_waitcnt vmcnt(1) lgkmcnt(1)
	v_mul_f64 v[42:43], v[94:95], v[90:91]
	v_mul_f64 v[52:53], v[92:93], v[90:91]
	s_delay_alu instid0(VALU_DEP_2) | instskip(NEXT) | instid1(VALU_DEP_2)
	v_fma_f64 v[90:91], v[92:93], v[88:89], -v[42:43]
	v_fma_f64 v[92:93], v[94:95], v[88:89], v[52:53]
	s_waitcnt vmcnt(0) lgkmcnt(0)
	v_mul_f64 v[42:43], v[102:103], v[98:99]
	v_mul_f64 v[52:53], v[100:101], v[98:99]
	s_delay_alu instid0(VALU_DEP_2) | instskip(NEXT) | instid1(VALU_DEP_2)
	v_fma_f64 v[94:95], v[100:101], v[96:97], -v[42:43]
	v_fma_f64 v[96:97], v[102:103], v[96:97], v[52:53]
	ds_store_b128 v134, v[30:33]
	ds_store_b128 v134, v[34:37] offset:1680
	ds_store_b128 v134, v[38:41] offset:3360
	;; [unrolled: 1-line block ×10, first 2 shown]
	s_and_saveexec_b32 s2, vcc_lo
	s_cbranch_execz .LBB0_13
; %bb.12:
	s_clause 0x1
	global_load_b128 v[30:33], v[28:29], off offset:880
	global_load_b128 v[34:37], v[28:29], off offset:2560
	v_add_co_u32 v46, s1, 0x1000, v28
	s_delay_alu instid0(VALU_DEP_1)
	v_add_co_ci_u32_e64 v47, s1, 0, v29, s1
	v_add_co_u32 v54, s1, 0x2000, v28
	s_clause 0x2
	global_load_b128 v[38:41], v[46:47], off offset:144
	global_load_b128 v[42:45], v[46:47], off offset:1824
	;; [unrolled: 1-line block ×3, first 2 shown]
	v_add_co_ci_u32_e64 v55, s1, 0, v29, s1
	s_clause 0x1
	global_load_b128 v[50:53], v[54:55], off offset:1088
	global_load_b128 v[54:57], v[54:55], off offset:2768
	v_add_co_u32 v66, s1, 0x3000, v28
	s_delay_alu instid0(VALU_DEP_1) | instskip(SKIP_4) | instid1(VALU_DEP_1)
	v_add_co_ci_u32_e64 v67, s1, 0, v29, s1
	s_clause 0x1
	global_load_b128 v[58:61], v[66:67], off offset:352
	global_load_b128 v[62:65], v[66:67], off offset:2032
	v_add_co_u32 v28, s1, 0x4000, v28
	v_add_co_ci_u32_e64 v29, s1, 0, v29, s1
	s_clause 0x1
	global_load_b128 v[66:69], v[66:67], off offset:3712
	global_load_b128 v[88:91], v[28:29], off offset:1296
	ds_load_b128 v[92:95], v134 offset:880
	ds_load_b128 v[96:99], v134 offset:2560
	;; [unrolled: 1-line block ×3, first 2 shown]
	s_waitcnt vmcnt(10) lgkmcnt(2)
	v_mul_f64 v[28:29], v[94:95], v[32:33]
	v_mul_f64 v[32:33], v[92:93], v[32:33]
	s_waitcnt vmcnt(9) lgkmcnt(1)
	v_mul_f64 v[70:71], v[98:99], v[36:37]
	v_mul_f64 v[36:37], v[96:97], v[36:37]
	s_delay_alu instid0(VALU_DEP_4) | instskip(NEXT) | instid1(VALU_DEP_4)
	v_fma_f64 v[28:29], v[92:93], v[30:31], -v[28:29]
	v_fma_f64 v[30:31], v[94:95], v[30:31], v[32:33]
	ds_load_b128 v[92:95], v134 offset:5920
	s_waitcnt vmcnt(8) lgkmcnt(1)
	v_mul_f64 v[104:105], v[102:103], v[40:41]
	v_mul_f64 v[40:41], v[100:101], v[40:41]
	v_fma_f64 v[32:33], v[96:97], v[34:35], -v[70:71]
	v_fma_f64 v[34:35], v[98:99], v[34:35], v[36:37]
	ds_load_b128 v[96:99], v134 offset:7600
	s_waitcnt vmcnt(7) lgkmcnt(1)
	v_mul_f64 v[70:71], v[94:95], v[44:45]
	v_mul_f64 v[44:45], v[92:93], v[44:45]
	;; [unrolled: 6-line block ×8, first 2 shown]
	v_fma_f64 v[60:61], v[100:101], v[62:63], -v[104:105]
	s_waitcnt vmcnt(0) lgkmcnt(0)
	v_mul_f64 v[100:101], v[98:99], v[90:91]
	v_mul_f64 v[90:91], v[96:97], v[90:91]
	v_fma_f64 v[62:63], v[102:103], v[62:63], v[64:65]
	v_fma_f64 v[64:65], v[92:93], v[66:67], -v[70:71]
	v_fma_f64 v[66:67], v[94:95], v[66:67], v[68:69]
	v_fma_f64 v[68:69], v[96:97], v[88:89], -v[100:101]
	v_fma_f64 v[70:71], v[98:99], v[88:89], v[90:91]
	ds_store_b128 v134, v[28:31] offset:880
	ds_store_b128 v134, v[32:35] offset:2560
	;; [unrolled: 1-line block ×11, first 2 shown]
.LBB0_13:
	s_or_b32 exec_lo, exec_lo, s2
	s_waitcnt lgkmcnt(0)
	s_barrier
	buffer_gl0_inv
	ds_load_b128 v[32:35], v134
	ds_load_b128 v[28:31], v134 offset:1680
	ds_load_b128 v[36:39], v134 offset:3360
	;; [unrolled: 1-line block ×10, first 2 shown]
	s_and_saveexec_b32 s1, vcc_lo
	s_cbranch_execz .LBB0_15
; %bb.14:
	ds_load_b128 v[252:255], v134 offset:880
	ds_load_b128 v[12:15], v134 offset:2560
	;; [unrolled: 1-line block ×11, first 2 shown]
.LBB0_15:
	s_or_b32 exec_lo, exec_lo, s1
	s_waitcnt lgkmcnt(9)
	v_add_f64 v[88:89], v[32:33], v[28:29]
	v_add_f64 v[90:91], v[34:35], v[30:31]
	s_waitcnt lgkmcnt(4)
	v_add_f64 v[92:93], v[56:57], v[52:53]
	v_add_f64 v[94:95], v[58:59], v[54:55]
	v_add_f64 v[96:97], v[56:57], -v[52:53]
	v_add_f64 v[98:99], v[58:59], -v[54:55]
	s_waitcnt lgkmcnt(3)
	v_add_f64 v[100:101], v[68:69], -v[48:49]
	s_waitcnt lgkmcnt(2)
	v_add_f64 v[102:103], v[60:61], v[64:65]
	s_waitcnt lgkmcnt(1)
	v_add_f64 v[104:105], v[36:37], v[44:45]
	v_add_f64 v[106:107], v[36:37], -v[44:45]
	s_mov_b32 s22, 0xf8bb580b
	s_mov_b32 s28, 0x8eee2c13
	;; [unrolled: 1-line block ×28, first 2 shown]
	v_add_f64 v[88:89], v[88:89], v[36:37]
	v_add_f64 v[90:91], v[90:91], v[38:39]
	s_mov_b32 s35, 0x3fd207e7
	s_mov_b32 s34, s14
	v_mul_f64 v[154:155], v[94:95], s[12:13]
	v_mul_f64 v[152:153], v[98:99], s[14:15]
	;; [unrolled: 1-line block ×3, first 2 shown]
	s_waitcnt lgkmcnt(0)
	s_barrier
	buffer_gl0_inv
	v_add_f64 v[88:89], v[88:89], v[60:61]
	v_add_f64 v[90:91], v[90:91], v[62:63]
	v_add_f64 v[60:61], v[60:61], -v[64:65]
	s_delay_alu instid0(VALU_DEP_3) | instskip(NEXT) | instid1(VALU_DEP_3)
	v_add_f64 v[88:89], v[88:89], v[68:69]
	v_add_f64 v[90:91], v[90:91], v[70:71]
	s_delay_alu instid0(VALU_DEP_2) | instskip(NEXT) | instid1(VALU_DEP_2)
	v_add_f64 v[88:89], v[88:89], v[56:57]
	v_add_f64 v[90:91], v[90:91], v[58:59]
	s_delay_alu instid0(VALU_DEP_2) | instskip(NEXT) | instid1(VALU_DEP_2)
	v_add_f64 v[52:53], v[88:89], v[52:53]
	v_add_f64 v[54:55], v[90:91], v[54:55]
	v_add_f64 v[88:89], v[68:69], v[48:49]
	v_add_f64 v[90:91], v[70:71], v[50:51]
	v_add_f64 v[68:69], v[70:71], -v[50:51]
	v_add_f64 v[70:71], v[62:63], v[66:67]
	v_add_f64 v[62:63], v[62:63], -v[66:67]
	v_add_f64 v[48:49], v[52:53], v[48:49]
	v_add_f64 v[50:51], v[54:55], v[50:51]
	v_mul_f64 v[146:147], v[90:91], s[8:9]
	v_mul_f64 v[144:145], v[68:69], s[18:19]
	;; [unrolled: 1-line block ×5, first 2 shown]
	v_add_f64 v[48:49], v[48:49], v[64:65]
	v_add_f64 v[50:51], v[50:51], v[66:67]
	v_add_f64 v[64:65], v[38:39], v[46:47]
	v_add_f64 v[66:67], v[38:39], -v[46:47]
	s_delay_alu instid0(VALU_DEP_4) | instskip(NEXT) | instid1(VALU_DEP_4)
	v_add_f64 v[36:37], v[48:49], v[44:45]
	v_add_f64 v[38:39], v[50:51], v[46:47]
	v_add_f64 v[44:45], v[30:31], -v[42:43]
	v_add_f64 v[46:47], v[28:29], v[40:41]
	v_add_f64 v[48:49], v[30:31], v[42:43]
	v_add_f64 v[50:51], v[28:29], -v[40:41]
	v_mul_f64 v[136:137], v[66:67], s[28:29]
	v_mul_f64 v[138:139], v[64:65], s[2:3]
	v_add_f64 v[28:29], v[36:37], v[40:41]
	v_add_f64 v[30:31], v[38:39], v[42:43]
	v_mul_f64 v[36:37], v[44:45], s[22:23]
	v_mul_f64 v[38:39], v[44:45], s[28:29]
	;; [unrolled: 1-line block ×8, first 2 shown]
	v_fma_f64 v[52:53], v[46:47], s[20:21], v[36:37]
	v_fma_f64 v[36:37], v[46:47], s[20:21], -v[36:37]
	v_fma_f64 v[54:55], v[46:47], s[2:3], v[38:39]
	v_fma_f64 v[38:39], v[46:47], s[2:3], -v[38:39]
	;; [unrolled: 2-line block ×5, first 2 shown]
	v_mul_f64 v[46:47], v[48:49], s[20:21]
	v_mul_f64 v[48:49], v[48:49], s[12:13]
	v_fma_f64 v[120:121], v[50:51], s[16:17], v[110:111]
	v_fma_f64 v[110:111], v[50:51], s[28:29], v[110:111]
	;; [unrolled: 1-line block ×6, first 2 shown]
	v_add_f64 v[38:39], v[32:33], v[38:39]
	v_add_f64 v[56:57], v[32:33], v[56:57]
	;; [unrolled: 1-line block ×5, first 2 shown]
	v_fma_f64 v[118:119], v[50:51], s[36:37], v[46:47]
	v_fma_f64 v[46:47], v[50:51], s[22:23], v[46:47]
	;; [unrolled: 1-line block ×4, first 2 shown]
	v_add_f64 v[50:51], v[32:33], v[52:53]
	v_mul_f64 v[44:45], v[66:67], s[18:19]
	v_add_f64 v[114:115], v[34:35], v[114:115]
	v_add_f64 v[116:117], v[34:35], v[116:117]
	;; [unrolled: 1-line block ×12, first 2 shown]
	v_fma_f64 v[32:33], v[104:105], s[2:3], v[136:137]
	v_add_f64 v[126:127], v[34:35], v[126:127]
	v_add_f64 v[132:133], v[34:35], v[48:49]
	v_fma_f64 v[34:35], v[106:107], s[16:17], v[138:139]
	v_fma_f64 v[40:41], v[102:103], s[26:27], v[140:141]
	v_mul_f64 v[48:49], v[64:65], s[8:9]
	v_add_f64 v[32:33], v[32:33], v[50:51]
	v_mul_f64 v[50:51], v[70:71], s[12:13]
	v_add_f64 v[34:35], v[34:35], v[52:53]
	v_mul_f64 v[52:53], v[68:69], s[30:31]
	s_delay_alu instid0(VALU_DEP_4) | instskip(SKIP_1) | instid1(VALU_DEP_1)
	v_add_f64 v[32:33], v[40:41], v[32:33]
	v_fma_f64 v[40:41], v[60:61], s[30:31], v[142:143]
	v_add_f64 v[34:35], v[40:41], v[34:35]
	v_fma_f64 v[40:41], v[88:89], s[8:9], v[144:145]
	s_delay_alu instid0(VALU_DEP_1) | instskip(SKIP_1) | instid1(VALU_DEP_1)
	v_add_f64 v[32:33], v[40:41], v[32:33]
	v_fma_f64 v[40:41], v[100:101], s[38:39], v[146:147]
	v_add_f64 v[34:35], v[40:41], v[34:35]
	v_fma_f64 v[40:41], v[92:93], s[12:13], v[152:153]
	s_delay_alu instid0(VALU_DEP_1) | instskip(SKIP_1) | instid1(VALU_DEP_1)
	v_add_f64 v[32:33], v[40:41], v[32:33]
	v_fma_f64 v[40:41], v[96:97], s[34:35], v[154:155]
	v_add_f64 v[34:35], v[40:41], v[34:35]
	v_fma_f64 v[40:41], v[104:105], s[8:9], v[44:45]
	v_fma_f64 v[44:45], v[104:105], s[8:9], -v[44:45]
	s_delay_alu instid0(VALU_DEP_2) | instskip(SKIP_1) | instid1(VALU_DEP_3)
	v_add_f64 v[36:37], v[40:41], v[36:37]
	v_fma_f64 v[40:41], v[106:107], s[38:39], v[48:49]
	v_add_f64 v[38:39], v[44:45], v[38:39]
	v_fma_f64 v[44:45], v[106:107], s[18:19], v[48:49]
	s_delay_alu instid0(VALU_DEP_3) | instskip(SKIP_1) | instid1(VALU_DEP_3)
	v_add_f64 v[40:41], v[40:41], v[46:47]
	v_mul_f64 v[46:47], v[62:63], s[34:35]
	v_add_f64 v[44:45], v[44:45], v[54:55]
	v_mul_f64 v[54:55], v[62:63], s[16:17]
	s_delay_alu instid0(VALU_DEP_3) | instskip(SKIP_1) | instid1(VALU_DEP_2)
	v_fma_f64 v[42:43], v[102:103], s[12:13], v[46:47]
	v_fma_f64 v[46:47], v[102:103], s[12:13], -v[46:47]
	v_add_f64 v[36:37], v[42:43], v[36:37]
	v_fma_f64 v[42:43], v[60:61], s[14:15], v[50:51]
	s_delay_alu instid0(VALU_DEP_3)
	v_add_f64 v[38:39], v[46:47], v[38:39]
	v_fma_f64 v[46:47], v[60:61], s[34:35], v[50:51]
	v_fma_f64 v[50:51], v[102:103], s[2:3], v[54:55]
	v_fma_f64 v[54:55], v[102:103], s[2:3], -v[54:55]
	v_add_f64 v[40:41], v[42:43], v[40:41]
	v_fma_f64 v[42:43], v[88:89], s[26:27], v[52:53]
	v_add_f64 v[44:45], v[46:47], v[44:45]
	v_fma_f64 v[46:47], v[88:89], s[26:27], -v[52:53]
	v_mul_f64 v[52:53], v[64:65], s[12:13]
	s_delay_alu instid0(VALU_DEP_4) | instskip(SKIP_1) | instid1(VALU_DEP_4)
	v_add_f64 v[36:37], v[42:43], v[36:37]
	v_fma_f64 v[42:43], v[100:101], s[24:25], v[156:157]
	v_add_f64 v[38:39], v[46:47], v[38:39]
	v_fma_f64 v[46:47], v[100:101], s[30:31], v[156:157]
	v_mul_f64 v[156:157], v[90:91], s[20:21]
	s_delay_alu instid0(VALU_DEP_4) | instskip(SKIP_1) | instid1(VALU_DEP_4)
	v_add_f64 v[42:43], v[42:43], v[40:41]
	v_fma_f64 v[40:41], v[92:93], s[20:21], v[158:159]
	v_add_f64 v[44:45], v[46:47], v[44:45]
	v_fma_f64 v[46:47], v[92:93], s[20:21], -v[158:159]
	v_mul_f64 v[158:159], v[98:99], s[18:19]
	s_delay_alu instid0(VALU_DEP_4) | instskip(SKIP_1) | instid1(VALU_DEP_1)
	v_add_f64 v[40:41], v[40:41], v[36:37]
	v_mul_f64 v[36:37], v[94:95], s[20:21]
	v_fma_f64 v[48:49], v[96:97], s[36:37], v[36:37]
	v_fma_f64 v[160:161], v[96:97], s[22:23], v[36:37]
	v_add_f64 v[36:37], v[46:47], v[38:39]
	s_delay_alu instid0(VALU_DEP_3) | instskip(SKIP_4) | instid1(VALU_DEP_4)
	v_add_f64 v[38:39], v[48:49], v[44:45]
	v_mul_f64 v[44:45], v[66:67], s[34:35]
	v_fma_f64 v[48:49], v[106:107], s[14:15], v[52:53]
	v_fma_f64 v[52:53], v[106:107], s[34:35], v[52:53]
	v_add_f64 v[42:43], v[160:161], v[42:43]
	v_fma_f64 v[46:47], v[104:105], s[12:13], v[44:45]
	s_delay_alu instid0(VALU_DEP_4)
	v_add_f64 v[48:49], v[48:49], v[110:111]
	v_mul_f64 v[110:111], v[68:69], s[22:23]
	v_fma_f64 v[44:45], v[104:105], s[12:13], -v[44:45]
	v_add_f64 v[52:53], v[52:53], v[114:115]
	v_add_f64 v[46:47], v[46:47], v[56:57]
	v_mul_f64 v[56:57], v[70:71], s[2:3]
	s_delay_alu instid0(VALU_DEP_4) | instskip(NEXT) | instid1(VALU_DEP_3)
	v_add_f64 v[44:45], v[44:45], v[120:121]
	v_add_f64 v[46:47], v[50:51], v[46:47]
	s_delay_alu instid0(VALU_DEP_3) | instskip(NEXT) | instid1(VALU_DEP_3)
	v_fma_f64 v[50:51], v[60:61], s[28:29], v[56:57]
	v_add_f64 v[44:45], v[54:55], v[44:45]
	v_fma_f64 v[54:55], v[60:61], s[16:17], v[56:57]
	v_mul_f64 v[56:57], v[66:67], s[30:31]
	s_delay_alu instid0(VALU_DEP_4) | instskip(SKIP_1) | instid1(VALU_DEP_4)
	v_add_f64 v[48:49], v[50:51], v[48:49]
	v_fma_f64 v[50:51], v[88:89], s[20:21], v[110:111]
	v_add_f64 v[52:53], v[54:55], v[52:53]
	v_fma_f64 v[54:55], v[88:89], s[20:21], -v[110:111]
	v_mul_f64 v[110:111], v[62:63], s[22:23]
	v_mul_f64 v[62:63], v[62:63], s[18:19]
	v_add_f64 v[46:47], v[50:51], v[46:47]
	v_fma_f64 v[50:51], v[100:101], s[36:37], v[156:157]
	v_add_f64 v[44:45], v[54:55], v[44:45]
	v_fma_f64 v[54:55], v[100:101], s[22:23], v[156:157]
	v_fma_f64 v[114:115], v[102:103], s[20:21], v[110:111]
	v_fma_f64 v[110:111], v[102:103], s[20:21], -v[110:111]
	v_add_f64 v[50:51], v[50:51], v[48:49]
	v_fma_f64 v[48:49], v[92:93], s[8:9], v[158:159]
	v_add_f64 v[52:53], v[54:55], v[52:53]
	v_fma_f64 v[54:55], v[92:93], s[8:9], -v[158:159]
	s_delay_alu instid0(VALU_DEP_3) | instskip(SKIP_1) | instid1(VALU_DEP_3)
	v_add_f64 v[48:49], v[48:49], v[46:47]
	v_mul_f64 v[46:47], v[94:95], s[8:9]
	v_add_f64 v[44:45], v[54:55], v[44:45]
	s_delay_alu instid0(VALU_DEP_2) | instskip(SKIP_1) | instid1(VALU_DEP_2)
	v_fma_f64 v[160:161], v[96:97], s[38:39], v[46:47]
	v_fma_f64 v[46:47], v[96:97], s[18:19], v[46:47]
	v_add_f64 v[50:51], v[160:161], v[50:51]
	s_delay_alu instid0(VALU_DEP_2) | instskip(SKIP_2) | instid1(VALU_DEP_2)
	v_add_f64 v[46:47], v[46:47], v[52:53]
	v_fma_f64 v[52:53], v[104:105], s[26:27], v[56:57]
	v_fma_f64 v[56:57], v[104:105], s[26:27], -v[56:57]
	v_add_f64 v[52:53], v[52:53], v[58:59]
	v_mul_f64 v[58:59], v[64:65], s[26:27]
	s_delay_alu instid0(VALU_DEP_3) | instskip(SKIP_1) | instid1(VALU_DEP_4)
	v_add_f64 v[56:57], v[56:57], v[124:125]
	v_add_f64 v[124:125], v[14:15], v[194:195]
	;; [unrolled: 1-line block ×3, first 2 shown]
	s_delay_alu instid0(VALU_DEP_4)
	v_fma_f64 v[54:55], v[106:107], s[24:25], v[58:59]
	v_mul_f64 v[114:115], v[70:71], s[20:21]
	v_fma_f64 v[58:59], v[106:107], s[30:31], v[58:59]
	v_add_f64 v[56:57], v[110:111], v[56:57]
	v_mul_f64 v[70:71], v[70:71], s[8:9]
	v_add_f64 v[54:55], v[54:55], v[122:123]
	v_fma_f64 v[120:121], v[60:61], s[36:37], v[114:115]
	v_add_f64 v[58:59], v[58:59], v[116:117]
	v_fma_f64 v[110:111], v[60:61], s[22:23], v[114:115]
	s_delay_alu instid0(VALU_DEP_3) | instskip(SKIP_1) | instid1(VALU_DEP_3)
	v_add_f64 v[54:55], v[120:121], v[54:55]
	v_mul_f64 v[120:121], v[68:69], s[14:15]
	v_add_f64 v[58:59], v[110:111], v[58:59]
	v_mul_f64 v[68:69], v[68:69], s[16:17]
	s_delay_alu instid0(VALU_DEP_3) | instskip(SKIP_2) | instid1(VALU_DEP_3)
	v_fma_f64 v[122:123], v[88:89], s[12:13], v[120:121]
	v_fma_f64 v[110:111], v[88:89], s[12:13], -v[120:121]
	v_add_f64 v[120:121], v[14:15], -v[194:195]
	v_add_f64 v[52:53], v[122:123], v[52:53]
	v_mul_f64 v[122:123], v[90:91], s[12:13]
	s_delay_alu instid0(VALU_DEP_4) | instskip(SKIP_1) | instid1(VALU_DEP_3)
	v_add_f64 v[56:57], v[110:111], v[56:57]
	v_mul_f64 v[90:91], v[90:91], s[2:3]
	v_fma_f64 v[156:157], v[100:101], s[34:35], v[122:123]
	v_fma_f64 v[110:111], v[100:101], s[14:15], v[122:123]
	v_mul_f64 v[122:123], v[120:121], s[22:23]
	s_delay_alu instid0(VALU_DEP_3) | instskip(SKIP_1) | instid1(VALU_DEP_4)
	v_add_f64 v[54:55], v[156:157], v[54:55]
	v_mul_f64 v[156:157], v[98:99], s[16:17]
	v_add_f64 v[58:59], v[110:111], v[58:59]
	v_mul_f64 v[98:99], v[98:99], s[24:25]
	s_delay_alu instid0(VALU_DEP_3) | instskip(SKIP_1) | instid1(VALU_DEP_2)
	v_fma_f64 v[110:111], v[92:93], s[2:3], -v[156:157]
	v_fma_f64 v[158:159], v[92:93], s[2:3], v[156:157]
	v_add_f64 v[56:57], v[110:111], v[56:57]
	v_mul_f64 v[110:111], v[66:67], s[36:37]
	s_delay_alu instid0(VALU_DEP_3) | instskip(SKIP_2) | instid1(VALU_DEP_4)
	v_add_f64 v[52:53], v[158:159], v[52:53]
	v_mul_f64 v[158:159], v[94:95], s[2:3]
	v_mul_f64 v[94:95], v[94:95], s[26:27]
	v_fma_f64 v[66:67], v[104:105], s[20:21], v[110:111]
	v_fma_f64 v[110:111], v[104:105], s[20:21], -v[110:111]
	s_delay_alu instid0(VALU_DEP_4) | instskip(SKIP_1) | instid1(VALU_DEP_4)
	v_fma_f64 v[114:115], v[96:97], s[16:17], v[158:159]
	v_fma_f64 v[160:161], v[96:97], s[28:29], v[158:159]
	v_add_f64 v[66:67], v[66:67], v[108:109]
	v_mul_f64 v[108:109], v[64:65], s[20:21]
	s_delay_alu instid0(VALU_DEP_4)
	v_add_f64 v[58:59], v[114:115], v[58:59]
	v_fma_f64 v[114:115], v[102:103], s[8:9], v[62:63]
	v_add_f64 v[110:111], v[110:111], v[130:131]
	v_fma_f64 v[62:63], v[102:103], s[8:9], -v[62:63]
	v_add_f64 v[54:55], v[160:161], v[54:55]
	v_mul_f64 v[130:131], v[120:121], s[28:29]
	v_fma_f64 v[64:65], v[106:107], s[22:23], v[108:109]
	v_fma_f64 v[108:109], v[106:107], s[36:37], v[108:109]
	v_add_f64 v[66:67], v[114:115], v[66:67]
	v_fma_f64 v[114:115], v[60:61], s[38:39], v[70:71]
	v_add_f64 v[62:63], v[62:63], v[110:111]
	v_fma_f64 v[70:71], v[60:61], s[18:19], v[70:71]
	v_fma_f64 v[60:61], v[60:61], s[24:25], v[142:143]
	v_add_f64 v[64:65], v[64:65], v[126:127]
	v_add_f64 v[108:109], v[108:109], v[132:133]
	v_add_f64 v[126:127], v[12:13], -v[192:193]
	v_mul_f64 v[132:133], v[124:125], s[2:3]
	s_delay_alu instid0(VALU_DEP_4) | instskip(SKIP_4) | instid1(VALU_DEP_4)
	v_add_f64 v[64:65], v[114:115], v[64:65]
	v_fma_f64 v[114:115], v[88:89], s[2:3], v[68:69]
	v_fma_f64 v[68:69], v[88:89], s[2:3], -v[68:69]
	v_add_f64 v[70:71], v[70:71], v[108:109]
	v_fma_f64 v[88:89], v[88:89], s[8:9], -v[144:145]
	v_add_f64 v[66:67], v[114:115], v[66:67]
	s_delay_alu instid0(VALU_DEP_4) | instskip(SKIP_3) | instid1(VALU_DEP_3)
	v_add_f64 v[62:63], v[68:69], v[62:63]
	v_fma_f64 v[68:69], v[100:101], s[16:17], v[90:91]
	v_fma_f64 v[114:115], v[100:101], s[28:29], v[90:91]
	;; [unrolled: 1-line block ×3, first 2 shown]
	v_add_f64 v[70:71], v[68:69], v[70:71]
	v_fma_f64 v[68:69], v[92:93], s[26:27], -v[98:99]
	s_delay_alu instid0(VALU_DEP_4)
	v_add_f64 v[114:115], v[114:115], v[64:65]
	v_fma_f64 v[64:65], v[92:93], s[26:27], v[98:99]
	v_fma_f64 v[98:99], v[100:101], s[18:19], v[146:147]
	v_add_f64 v[70:71], v[90:91], v[70:71]
	v_add_f64 v[68:69], v[68:69], v[62:63]
	v_fma_f64 v[62:63], v[104:105], s[2:3], -v[136:137]
	v_fma_f64 v[90:91], v[106:107], s[28:29], v[138:139]
	v_add_f64 v[64:65], v[64:65], v[66:67]
	v_fma_f64 v[66:67], v[96:97], s[30:31], v[94:95]
	v_fma_f64 v[94:95], v[102:103], s[26:27], -v[140:141]
	v_add_f64 v[62:63], v[62:63], v[118:119]
	v_add_f64 v[90:91], v[90:91], v[128:129]
	;; [unrolled: 1-line block ×4, first 2 shown]
	ds_store_b128 v135, v[40:43] offset:32
	ds_store_b128 v135, v[48:51] offset:48
	;; [unrolled: 1-line block ×6, first 2 shown]
	v_add_f64 v[62:63], v[94:95], v[62:63]
	v_add_f64 v[60:61], v[60:61], v[90:91]
	v_fma_f64 v[90:91], v[92:93], s[12:13], -v[152:153]
	v_fma_f64 v[92:93], v[96:97], s[14:15], v[154:155]
	ds_store_b128 v135, v[44:47] offset:128
	ds_store_b128 v135, v[36:39] offset:144
	v_add_f64 v[44:45], v[18:19], -v[246:247]
	v_add_f64 v[42:43], v[16:17], v[244:245]
	ds_store_b128 v135, v[32:35] offset:16
	ds_store_b128 v135, v[28:31]
	v_fma_f64 v[32:33], v[118:119], s[20:21], -v[122:123]
	v_mul_f64 v[128:129], v[124:125], s[20:21]
	v_add_f64 v[96:97], v[18:19], v[246:247]
	v_add_f64 v[56:57], v[20:21], v[248:249]
	;; [unrolled: 1-line block ×5, first 2 shown]
	v_add_f64 v[68:69], v[24:25], -v[0:1]
	v_add_f64 v[40:41], v[10:11], -v[6:7]
	v_add_f64 v[36:37], v[8:9], v[4:5]
	v_add_f64 v[64:65], v[10:11], v[6:7]
	v_add_f64 v[52:53], v[8:9], -v[4:5]
	v_add_f64 v[62:63], v[88:89], v[62:63]
	v_add_f64 v[88:89], v[98:99], v[60:61]
	v_add_f64 v[98:99], v[16:17], -v[244:245]
	v_mul_f64 v[46:47], v[44:45], s[28:29]
	v_mul_f64 v[102:103], v[44:45], s[18:19]
	v_add_f64 v[30:31], v[252:253], v[32:33]
	v_fma_f64 v[32:33], v[126:127], s[22:23], v[128:129]
	v_mul_f64 v[100:101], v[96:97], s[2:3]
	v_mul_f64 v[110:111], v[96:97], s[8:9]
	;; [unrolled: 1-line block ×6, first 2 shown]
	v_add_f64 v[60:61], v[90:91], v[62:63]
	v_add_f64 v[62:63], v[92:93], v[88:89]
	v_add_f64 v[92:93], v[20:21], -v[248:249]
	v_fma_f64 v[28:29], v[42:43], s[2:3], -v[46:47]
	v_fma_f64 v[88:89], v[98:99], s[18:19], v[110:111]
	ds_store_b128 v135, v[60:63] offset:160
	v_add_f64 v[62:63], v[22:23], -v[250:251]
	v_add_f64 v[60:61], v[26:27], -v[2:3]
	v_add_f64 v[28:29], v[28:29], v[30:31]
	v_add_f64 v[30:31], v[254:255], v[32:33]
	v_fma_f64 v[32:33], v[98:99], s[28:29], v[100:101]
	v_mul_f64 v[58:59], v[62:63], s[24:25]
	v_mul_f64 v[50:51], v[60:61], s[18:19]
	;; [unrolled: 1-line block ×4, first 2 shown]
	v_add_f64 v[30:31], v[32:33], v[30:31]
	v_fma_f64 v[32:33], v[56:57], s[26:27], -v[58:59]
	s_delay_alu instid0(VALU_DEP_1) | instskip(SKIP_1) | instid1(VALU_DEP_1)
	v_add_f64 v[28:29], v[32:33], v[28:29]
	v_fma_f64 v[32:33], v[92:93], s[24:25], v[94:95]
	v_add_f64 v[30:31], v[32:33], v[30:31]
	v_fma_f64 v[32:33], v[48:49], s[8:9], -v[50:51]
	s_delay_alu instid0(VALU_DEP_1) | instskip(SKIP_1) | instid1(VALU_DEP_1)
	v_add_f64 v[28:29], v[32:33], v[28:29]
	v_fma_f64 v[32:33], v[68:69], s[18:19], v[70:71]
	;; [unrolled: 5-line block ×3, first 2 shown]
	v_add_f64 v[34:35], v[28:29], v[30:31]
	v_fma_f64 v[28:29], v[118:119], s[2:3], -v[130:131]
	v_fma_f64 v[30:31], v[42:43], s[8:9], -v[102:103]
	s_delay_alu instid0(VALU_DEP_2) | instskip(NEXT) | instid1(VALU_DEP_1)
	v_add_f64 v[28:29], v[252:253], v[28:29]
	v_add_f64 v[28:29], v[30:31], v[28:29]
	v_fma_f64 v[30:31], v[126:127], s[28:29], v[132:133]
	s_delay_alu instid0(VALU_DEP_1) | instskip(NEXT) | instid1(VALU_DEP_1)
	v_add_f64 v[30:31], v[254:255], v[30:31]
	v_add_f64 v[30:31], v[88:89], v[30:31]
	v_fma_f64 v[88:89], v[56:57], s[12:13], -v[104:105]
	s_delay_alu instid0(VALU_DEP_1) | instskip(SKIP_1) | instid1(VALU_DEP_1)
	v_add_f64 v[28:29], v[88:89], v[28:29]
	v_mul_f64 v[88:89], v[114:115], s[12:13]
	v_fma_f64 v[90:91], v[92:93], s[34:35], v[88:89]
	s_delay_alu instid0(VALU_DEP_1) | instskip(SKIP_1) | instid1(VALU_DEP_1)
	v_add_f64 v[30:31], v[90:91], v[30:31]
	v_fma_f64 v[90:91], v[48:49], s[26:27], -v[108:109]
	v_add_f64 v[28:29], v[90:91], v[28:29]
	v_mul_f64 v[90:91], v[66:67], s[26:27]
	s_delay_alu instid0(VALU_DEP_1) | instskip(NEXT) | instid1(VALU_DEP_1)
	v_fma_f64 v[106:107], v[68:69], s[30:31], v[90:91]
	v_add_f64 v[30:31], v[106:107], v[30:31]
	v_mul_f64 v[106:107], v[40:41], s[36:37]
	s_delay_alu instid0(VALU_DEP_1) | instskip(NEXT) | instid1(VALU_DEP_1)
	v_fma_f64 v[116:117], v[36:37], s[20:21], -v[106:107]
	v_add_f64 v[28:29], v[116:117], v[28:29]
	v_mul_f64 v[116:117], v[64:65], s[20:21]
	s_delay_alu instid0(VALU_DEP_1) | instskip(NEXT) | instid1(VALU_DEP_1)
	v_fma_f64 v[135:136], v[52:53], s[36:37], v[116:117]
	v_add_f64 v[30:31], v[135:136], v[30:31]
	s_and_saveexec_b32 s1, vcc_lo
	s_cbranch_execz .LBB0_17
; %bb.16:
	v_add_f64 v[14:15], v[254:255], v[14:15]
	v_add_f64 v[12:13], v[252:253], v[12:13]
	v_mul_f64 v[141:142], v[52:53], s[24:25]
	v_mul_f64 v[143:144], v[40:41], s[24:25]
	s_delay_alu instid0(VALU_DEP_4) | instskip(NEXT) | instid1(VALU_DEP_4)
	v_add_f64 v[14:15], v[14:15], v[18:19]
	v_add_f64 v[12:13], v[12:13], v[16:17]
	v_mul_f64 v[16:17], v[126:127], s[18:19]
	s_delay_alu instid0(VALU_DEP_3) | instskip(NEXT) | instid1(VALU_DEP_3)
	v_add_f64 v[14:15], v[14:15], v[22:23]
	v_add_f64 v[12:13], v[12:13], v[20:21]
	v_mul_f64 v[20:21], v[126:127], s[24:25]
	s_delay_alu instid0(VALU_DEP_4)
	v_fma_f64 v[18:19], v[124:125], s[8:9], v[16:17]
	v_fma_f64 v[16:17], v[124:125], s[8:9], -v[16:17]
	v_add_f64 v[14:15], v[14:15], v[26:27]
	v_add_f64 v[12:13], v[12:13], v[24:25]
	v_fma_f64 v[22:23], v[124:125], s[26:27], -v[20:21]
	v_fma_f64 v[20:21], v[124:125], s[26:27], v[20:21]
	v_mul_f64 v[24:25], v[126:127], s[22:23]
	v_mul_f64 v[26:27], v[120:121], s[14:15]
	v_add_f64 v[18:19], v[254:255], v[18:19]
	v_add_f64 v[16:17], v[254:255], v[16:17]
	;; [unrolled: 1-line block ×4, first 2 shown]
	v_mul_f64 v[12:13], v[126:127], s[14:15]
	v_add_f64 v[22:23], v[254:255], v[22:23]
	v_add_f64 v[24:25], v[128:129], -v[24:25]
	v_add_f64 v[20:21], v[254:255], v[20:21]
	v_add_f64 v[6:7], v[10:11], v[6:7]
	;; [unrolled: 1-line block ×3, first 2 shown]
	v_mul_f64 v[8:9], v[126:127], s[28:29]
	v_mul_f64 v[10:11], v[118:119], s[2:3]
	v_fma_f64 v[14:15], v[124:125], s[12:13], v[12:13]
	v_fma_f64 v[12:13], v[124:125], s[12:13], -v[12:13]
	v_mul_f64 v[124:125], v[120:121], s[18:19]
	v_mul_f64 v[120:121], v[120:121], s[24:25]
	v_fma_f64 v[126:127], v[118:119], s[12:13], -v[26:27]
	v_fma_f64 v[26:27], v[118:119], s[12:13], v[26:27]
	v_add_f64 v[24:25], v[254:255], v[24:25]
	v_add_f64 v[8:9], v[132:133], -v[8:9]
	v_add_f64 v[10:11], v[10:11], v[130:131]
	v_add_f64 v[132:133], v[4:5], v[0:1]
	v_mul_f64 v[4:5], v[98:99], s[36:37]
	v_fma_f64 v[128:129], v[118:119], s[8:9], v[124:125]
	v_fma_f64 v[124:125], v[118:119], s[8:9], -v[124:125]
	v_fma_f64 v[130:131], v[118:119], s[26:27], v[120:121]
	v_fma_f64 v[120:121], v[118:119], s[26:27], -v[120:121]
	v_mul_f64 v[118:119], v[118:119], s[20:21]
	v_add_f64 v[14:15], v[254:255], v[14:15]
	v_add_f64 v[12:13], v[254:255], v[12:13]
	;; [unrolled: 1-line block ×5, first 2 shown]
	v_fma_f64 v[0:1], v[96:97], s[20:21], v[4:5]
	v_fma_f64 v[4:5], v[96:97], s[20:21], -v[4:5]
	v_add_f64 v[128:129], v[252:253], v[128:129]
	v_add_f64 v[124:125], v[252:253], v[124:125]
	;; [unrolled: 1-line block ×7, first 2 shown]
	v_mul_f64 v[6:7], v[44:45], s[36:37]
	v_add_f64 v[0:1], v[0:1], v[14:15]
	v_mul_f64 v[14:15], v[92:93], s[18:19]
	v_add_f64 v[4:5], v[4:5], v[12:13]
	v_add_f64 v[118:119], v[252:253], v[118:119]
	v_fma_f64 v[2:3], v[42:43], s[20:21], -v[6:7]
	v_fma_f64 v[6:7], v[42:43], s[20:21], v[6:7]
	v_fma_f64 v[12:13], v[114:115], s[8:9], -v[14:15]
	s_delay_alu instid0(VALU_DEP_3) | instskip(SKIP_1) | instid1(VALU_DEP_4)
	v_add_f64 v[2:3], v[2:3], v[122:123]
	v_fma_f64 v[122:123], v[114:115], s[8:9], v[14:15]
	v_add_f64 v[6:7], v[6:7], v[26:27]
	v_fma_f64 v[14:15], v[36:37], s[26:27], v[143:144]
	v_mul_f64 v[26:27], v[92:93], s[34:35]
	v_add_f64 v[4:5], v[12:13], v[4:5]
	v_add_f64 v[0:1], v[122:123], v[0:1]
	v_mul_f64 v[122:123], v[62:63], s[18:19]
	s_delay_alu instid0(VALU_DEP_4) | instskip(SKIP_1) | instid1(VALU_DEP_3)
	v_add_f64 v[26:27], v[88:89], -v[26:27]
	v_mul_f64 v[88:89], v[56:57], s[12:13]
	v_fma_f64 v[135:136], v[56:57], s[8:9], -v[122:123]
	v_fma_f64 v[12:13], v[56:57], s[8:9], v[122:123]
	v_mul_f64 v[122:123], v[40:41], s[18:19]
	s_delay_alu instid0(VALU_DEP_4) | instskip(SKIP_4) | instid1(VALU_DEP_2)
	v_add_f64 v[88:89], v[88:89], v[104:105]
	v_mul_f64 v[40:41], v[40:41], s[16:17]
	v_add_f64 v[2:3], v[135:136], v[2:3]
	v_mul_f64 v[135:136], v[68:69], s[16:17]
	v_add_f64 v[6:7], v[12:13], v[6:7]
	v_fma_f64 v[137:138], v[66:67], s[2:3], v[135:136]
	v_fma_f64 v[12:13], v[66:67], s[2:3], -v[135:136]
	s_delay_alu instid0(VALU_DEP_2) | instskip(SKIP_1) | instid1(VALU_DEP_3)
	v_add_f64 v[0:1], v[137:138], v[0:1]
	v_mul_f64 v[137:138], v[60:61], s[16:17]
	v_add_f64 v[4:5], v[12:13], v[4:5]
	s_delay_alu instid0(VALU_DEP_2) | instskip(SKIP_1) | instid1(VALU_DEP_2)
	v_fma_f64 v[12:13], v[48:49], s[2:3], v[137:138]
	v_fma_f64 v[139:140], v[48:49], s[2:3], -v[137:138]
	v_add_f64 v[12:13], v[12:13], v[6:7]
	v_fma_f64 v[6:7], v[64:65], s[26:27], -v[141:142]
	s_delay_alu instid0(VALU_DEP_3) | instskip(SKIP_1) | instid1(VALU_DEP_3)
	v_add_f64 v[139:140], v[139:140], v[2:3]
	v_fma_f64 v[2:3], v[64:65], s[26:27], v[141:142]
	v_add_f64 v[6:7], v[6:7], v[4:5]
	v_add_f64 v[4:5], v[14:15], v[12:13]
	v_mul_f64 v[12:13], v[98:99], s[18:19]
	v_mul_f64 v[14:15], v[42:43], s[8:9]
	v_add_f64 v[2:3], v[2:3], v[0:1]
	v_fma_f64 v[0:1], v[36:37], s[26:27], -v[143:144]
	s_delay_alu instid0(VALU_DEP_4) | instskip(NEXT) | instid1(VALU_DEP_4)
	v_add_f64 v[12:13], v[110:111], -v[12:13]
	v_add_f64 v[14:15], v[14:15], v[102:103]
	v_mul_f64 v[102:103], v[68:69], s[30:31]
	s_delay_alu instid0(VALU_DEP_4) | instskip(NEXT) | instid1(VALU_DEP_4)
	v_add_f64 v[0:1], v[0:1], v[139:140]
	v_add_f64 v[8:9], v[12:13], v[8:9]
	s_delay_alu instid0(VALU_DEP_4) | instskip(NEXT) | instid1(VALU_DEP_4)
	v_add_f64 v[10:11], v[14:15], v[10:11]
	v_add_f64 v[90:91], v[90:91], -v[102:103]
	v_mul_f64 v[102:103], v[48:49], s[26:27]
	v_mul_f64 v[12:13], v[52:53], s[36:37]
	;; [unrolled: 1-line block ×3, first 2 shown]
	v_add_f64 v[8:9], v[26:27], v[8:9]
	v_add_f64 v[10:11], v[88:89], v[10:11]
	;; [unrolled: 1-line block ×4, first 2 shown]
	v_add_f64 v[12:13], v[116:117], -v[12:13]
	v_add_f64 v[14:15], v[14:15], v[106:107]
	v_mul_f64 v[116:117], v[52:53], s[18:19]
	v_add_f64 v[8:9], v[90:91], v[8:9]
	v_mul_f64 v[90:91], v[98:99], s[34:35]
	v_add_f64 v[88:89], v[88:89], v[244:245]
	v_add_f64 v[26:27], v[102:103], v[10:11]
	v_mul_f64 v[102:103], v[92:93], s[16:17]
	v_add_f64 v[10:11], v[12:13], v[8:9]
	v_fma_f64 v[12:13], v[96:97], s[12:13], -v[90:91]
	v_fma_f64 v[90:91], v[96:97], s[12:13], v[90:91]
	v_add_f64 v[8:9], v[14:15], v[26:27]
	v_fma_f64 v[104:105], v[114:115], s[2:3], -v[102:103]
	v_add_f64 v[26:27], v[130:131], v[250:251]
	v_fma_f64 v[102:103], v[114:115], s[2:3], v[102:103]
	v_add_f64 v[12:13], v[12:13], v[22:23]
	v_mul_f64 v[22:23], v[44:45], s[34:35]
	v_mul_f64 v[44:45], v[44:45], s[30:31]
	v_add_f64 v[20:21], v[90:91], v[20:21]
	s_delay_alu instid0(VALU_DEP_4) | instskip(NEXT) | instid1(VALU_DEP_4)
	v_add_f64 v[12:13], v[104:105], v[12:13]
	v_fma_f64 v[14:15], v[42:43], s[12:13], v[22:23]
	v_mul_f64 v[104:105], v[62:63], s[16:17]
	v_fma_f64 v[22:23], v[42:43], s[12:13], -v[22:23]
	v_mul_f64 v[62:63], v[62:63], s[22:23]
	v_add_f64 v[20:21], v[102:103], v[20:21]
	v_add_f64 v[14:15], v[14:15], v[126:127]
	v_fma_f64 v[106:107], v[56:57], s[2:3], v[104:105]
	v_fma_f64 v[104:105], v[56:57], s[2:3], -v[104:105]
	v_add_f64 v[22:23], v[22:23], v[120:121]
	s_delay_alu instid0(VALU_DEP_3) | instskip(SKIP_1) | instid1(VALU_DEP_3)
	v_add_f64 v[14:15], v[106:107], v[14:15]
	v_mul_f64 v[106:107], v[68:69], s[22:23]
	v_add_f64 v[22:23], v[104:105], v[22:23]
	s_delay_alu instid0(VALU_DEP_2) | instskip(NEXT) | instid1(VALU_DEP_1)
	v_fma_f64 v[108:109], v[66:67], s[20:21], -v[106:107]
	v_add_f64 v[12:13], v[108:109], v[12:13]
	v_mul_f64 v[108:109], v[60:61], s[22:23]
	v_mul_f64 v[60:61], v[60:61], s[14:15]
	s_delay_alu instid0(VALU_DEP_2) | instskip(NEXT) | instid1(VALU_DEP_1)
	v_fma_f64 v[110:111], v[48:49], s[20:21], v[108:109]
	v_add_f64 v[110:111], v[110:111], v[14:15]
	v_fma_f64 v[14:15], v[64:65], s[8:9], -v[116:117]
	s_delay_alu instid0(VALU_DEP_1) | instskip(SKIP_1) | instid1(VALU_DEP_1)
	v_add_f64 v[14:15], v[14:15], v[12:13]
	v_fma_f64 v[12:13], v[36:37], s[8:9], v[122:123]
	v_add_f64 v[12:13], v[12:13], v[110:111]
	v_add_f64 v[110:111], v[26:27], v[246:247]
	v_mul_f64 v[26:27], v[98:99], s[30:31]
	s_delay_alu instid0(VALU_DEP_1)
	v_fma_f64 v[126:127], v[96:97], s[26:27], -v[26:27]
	v_fma_f64 v[26:27], v[96:97], s[26:27], v[26:27]
	v_mul_f64 v[96:97], v[98:99], s[28:29]
	v_fma_f64 v[98:99], v[42:43], s[26:27], v[44:45]
	v_fma_f64 v[44:45], v[42:43], s[26:27], -v[44:45]
	v_mul_f64 v[42:43], v[42:43], s[2:3]
	v_add_f64 v[16:17], v[126:127], v[16:17]
	v_add_f64 v[18:19], v[26:27], v[18:19]
	v_add_f64 v[96:97], v[100:101], -v[96:97]
	v_add_f64 v[98:99], v[98:99], v[128:129]
	v_add_f64 v[26:27], v[44:45], v[124:125]
	;; [unrolled: 1-line block ×3, first 2 shown]
	v_mul_f64 v[46:47], v[92:93], s[22:23]
	v_mul_f64 v[92:93], v[92:93], s[24:25]
	;; [unrolled: 1-line block ×3, first 2 shown]
	v_add_f64 v[24:25], v[96:97], v[24:25]
	v_add_f64 v[42:43], v[42:43], v[118:119]
	v_fma_f64 v[100:101], v[114:115], s[20:21], -v[46:47]
	v_add_f64 v[92:93], v[94:95], -v[92:93]
	v_fma_f64 v[94:95], v[56:57], s[20:21], v[62:63]
	v_fma_f64 v[62:63], v[56:57], s[20:21], -v[62:63]
	v_mul_f64 v[56:57], v[56:57], s[26:27]
	v_fma_f64 v[46:47], v[114:115], s[20:21], v[46:47]
	v_add_f64 v[44:45], v[54:55], -v[44:45]
	v_fma_f64 v[54:55], v[36:37], s[8:9], -v[122:123]
	v_add_f64 v[16:17], v[100:101], v[16:17]
	v_add_f64 v[24:25], v[92:93], v[24:25]
	;; [unrolled: 1-line block ×4, first 2 shown]
	v_mul_f64 v[58:59], v[68:69], s[14:15]
	v_mul_f64 v[68:69], v[68:69], s[18:19]
	v_add_f64 v[18:19], v[46:47], v[18:19]
	v_fma_f64 v[46:47], v[36:37], s[2:3], v[40:41]
	v_fma_f64 v[40:41], v[36:37], s[2:3], -v[40:41]
	v_mul_f64 v[36:37], v[36:37], s[12:13]
	v_add_f64 v[42:43], v[56:57], v[42:43]
	v_fma_f64 v[114:115], v[66:67], s[12:13], -v[58:59]
	v_fma_f64 v[58:59], v[66:67], s[12:13], v[58:59]
	v_fma_f64 v[66:67], v[66:67], s[20:21], v[106:107]
	v_add_f64 v[68:69], v[70:71], -v[68:69]
	v_fma_f64 v[70:71], v[48:49], s[12:13], v[60:61]
	v_fma_f64 v[60:61], v[48:49], s[12:13], -v[60:61]
	v_fma_f64 v[106:107], v[48:49], s[20:21], -v[108:109]
	v_mul_f64 v[48:49], v[48:49], s[8:9]
	v_add_f64 v[36:37], v[36:37], v[38:39]
	v_add_f64 v[16:17], v[114:115], v[16:17]
	;; [unrolled: 1-line block ×6, first 2 shown]
	v_mul_f64 v[50:51], v[52:53], s[16:17]
	v_add_f64 v[52:53], v[94:95], v[98:99]
	v_add_f64 v[20:21], v[40:41], v[26:27]
	;; [unrolled: 1-line block ×4, first 2 shown]
	v_fma_f64 v[108:109], v[64:65], s[2:3], -v[50:51]
	v_add_f64 v[38:39], v[70:71], v[52:53]
	v_add_f64 v[52:53], v[58:59], v[18:19]
	v_fma_f64 v[50:51], v[64:65], s[2:3], v[50:51]
	v_fma_f64 v[64:65], v[64:65], s[8:9], v[116:117]
	v_add_f64 v[58:59], v[106:107], v[22:23]
	v_add_f64 v[36:37], v[36:37], v[42:43]
	v_add_f64 v[18:19], v[108:109], v[16:17]
	v_add_f64 v[16:17], v[46:47], v[38:39]
	v_add_f64 v[38:39], v[44:45], v[60:61]
	scratch_load_b32 v44, off, off offset:636 ; 4-byte Folded Reload
	v_add_f64 v[22:23], v[50:51], v[52:53]
	v_add_f64 v[26:27], v[64:65], v[56:57]
	;; [unrolled: 1-line block ×4, first 2 shown]
	s_waitcnt vmcnt(0)
	v_lshlrev_b32_e32 v44, 4, v44
	ds_store_b128 v44, v[8:11] offset:32
	ds_store_b128 v44, v[12:15] offset:48
	;; [unrolled: 1-line block ×9, first 2 shown]
	ds_store_b128 v44, v[40:43]
	ds_store_b128 v44, v[32:35] offset:160
.LBB0_17:
	s_or_b32 exec_lo, exec_lo, s1
	s_waitcnt lgkmcnt(0)
	s_barrier
	buffer_gl0_inv
	ds_load_b128 v[12:15], v134
	ds_load_b128 v[8:11], v134 offset:880
	ds_load_b128 v[252:255], v134 offset:3696
	;; [unrolled: 1-line block ×19, first 2 shown]
	s_and_saveexec_b32 s1, s0
	s_cbranch_execz .LBB0_19
; %bb.18:
	ds_load_b128 v[28:31], v134 offset:3520
	ds_load_b128 v[32:35], v134 offset:7216
	;; [unrolled: 1-line block ×3, first 2 shown]
	s_waitcnt lgkmcnt(0)
	scratch_store_b128 off, v[88:91], off offset:24 ; 16-byte Folded Spill
	ds_load_b128 v[88:91], v134 offset:14608
	s_waitcnt lgkmcnt(0)
	scratch_store_b128 off, v[88:91], off offset:40 ; 16-byte Folded Spill
	ds_load_b128 v[88:91], v134 offset:18304
	s_waitcnt lgkmcnt(0)
	scratch_store_b128 off, v[88:91], off offset:8 ; 16-byte Folded Spill
.LBB0_19:
	s_or_b32 exec_lo, exec_lo, s1
	scratch_load_b128 v[90:93], off, off offset:492 ; 16-byte Folded Reload
	s_mov_b32 s12, 0x134454ff
	s_mov_b32 s13, 0xbfee6f0e
	;; [unrolled: 1-line block ×10, first 2 shown]
	scratch_load_b128 v[114:117], off, off offset:364 ; 16-byte Folded Reload
	s_waitcnt vmcnt(1) lgkmcnt(17)
	v_mul_f64 v[88:89], v[92:93], v[254:255]
	s_delay_alu instid0(VALU_DEP_1)
	v_fma_f64 v[96:97], v[90:91], v[252:253], v[88:89]
	v_mul_f64 v[88:89], v[92:93], v[252:253]
	scratch_load_b128 v[92:95], off, off offset:476 ; 16-byte Folded Reload
	v_fma_f64 v[90:91], v[90:91], v[254:255], -v[88:89]
	s_waitcnt vmcnt(0) lgkmcnt(15)
	v_mul_f64 v[88:89], v[94:95], v[250:251]
	s_delay_alu instid0(VALU_DEP_1) | instskip(SKIP_1) | instid1(VALU_DEP_1)
	v_fma_f64 v[102:103], v[92:93], v[248:249], v[88:89]
	v_mul_f64 v[88:89], v[94:95], v[248:249]
	v_fma_f64 v[104:105], v[92:93], v[250:251], -v[88:89]
	scratch_load_b128 v[92:95], off, off offset:524 ; 16-byte Folded Reload
	s_waitcnt lgkmcnt(13)
	v_mul_f64 v[88:89], v[174:175], v[246:247]
	s_delay_alu instid0(VALU_DEP_1) | instskip(SKIP_1) | instid1(VALU_DEP_2)
	v_fma_f64 v[100:101], v[172:173], v[244:245], v[88:89]
	v_mul_f64 v[88:89], v[174:175], v[244:245]
	v_add_f64 v[122:123], v[102:103], -v[100:101]
	s_delay_alu instid0(VALU_DEP_2) | instskip(NEXT) | instid1(VALU_DEP_1)
	v_fma_f64 v[98:99], v[172:173], v[246:247], -v[88:89]
	v_add_f64 v[118:119], v[104:105], -v[98:99]
	s_waitcnt vmcnt(0) lgkmcnt(11)
	v_mul_f64 v[88:89], v[94:95], v[192:193]
	s_delay_alu instid0(VALU_DEP_1) | instskip(SKIP_1) | instid1(VALU_DEP_2)
	v_fma_f64 v[106:107], v[92:93], v[194:195], -v[88:89]
	v_mul_f64 v[88:89], v[94:95], v[194:195]
	v_add_f64 v[120:121], v[90:91], -v[106:107]
	s_delay_alu instid0(VALU_DEP_2) | instskip(SKIP_1) | instid1(VALU_DEP_2)
	v_fma_f64 v[108:109], v[92:93], v[192:193], v[88:89]
	v_mul_f64 v[88:89], v[116:117], v[70:71]
	v_add_f64 v[124:125], v[96:97], -v[108:109]
	s_delay_alu instid0(VALU_DEP_2) | instskip(SKIP_1) | instid1(VALU_DEP_1)
	v_fma_f64 v[92:93], v[114:115], v[68:69], v[88:89]
	v_mul_f64 v[68:69], v[116:117], v[68:69]
	v_fma_f64 v[68:69], v[114:115], v[70:71], -v[68:69]
	scratch_load_b128 v[114:117], off, off offset:348 ; 16-byte Folded Reload
	s_waitcnt vmcnt(0)
	v_mul_f64 v[70:71], v[116:117], v[66:67]
	s_delay_alu instid0(VALU_DEP_1) | instskip(SKIP_1) | instid1(VALU_DEP_1)
	v_fma_f64 v[70:71], v[114:115], v[64:65], v[70:71]
	v_mul_f64 v[64:65], v[116:117], v[64:65]
	v_fma_f64 v[66:67], v[114:115], v[66:67], -v[64:65]
	scratch_load_b128 v[114:117], off, off offset:396 ; 16-byte Folded Reload
	s_waitcnt vmcnt(0)
	v_mul_f64 v[64:65], v[116:117], v[58:59]
	s_delay_alu instid0(VALU_DEP_1) | instskip(SKIP_1) | instid1(VALU_DEP_1)
	v_fma_f64 v[64:65], v[114:115], v[56:57], v[64:65]
	v_mul_f64 v[56:57], v[116:117], v[56:57]
	v_fma_f64 v[58:59], v[114:115], v[58:59], -v[56:57]
	scratch_load_b128 v[114:117], off, off offset:380 ; 16-byte Folded Reload
	s_waitcnt vmcnt(0) lgkmcnt(10)
	v_mul_f64 v[56:57], v[116:117], v[48:49]
	s_delay_alu instid0(VALU_DEP_1) | instskip(SKIP_1) | instid1(VALU_DEP_1)
	v_fma_f64 v[94:95], v[114:115], v[50:51], -v[56:57]
	v_mul_f64 v[50:51], v[116:117], v[50:51]
	v_fma_f64 v[88:89], v[114:115], v[48:49], v[50:51]
	scratch_load_b128 v[114:117], off, off offset:444 ; 16-byte Folded Reload
	s_waitcnt vmcnt(0) lgkmcnt(7)
	v_mul_f64 v[48:49], v[116:117], v[62:63]
	s_delay_alu instid0(VALU_DEP_1) | instskip(SKIP_1) | instid1(VALU_DEP_1)
	v_fma_f64 v[50:51], v[114:115], v[60:61], v[48:49]
	v_mul_f64 v[48:49], v[116:117], v[60:61]
	v_fma_f64 v[48:49], v[114:115], v[62:63], -v[48:49]
	scratch_load_b128 v[60:63], off, off offset:412 ; 16-byte Folded Reload
	s_waitcnt vmcnt(0) lgkmcnt(5)
	v_mul_f64 v[56:57], v[62:63], v[54:55]
	s_delay_alu instid0(VALU_DEP_1) | instskip(SKIP_1) | instid1(VALU_DEP_1)
	v_fma_f64 v[56:57], v[60:61], v[52:53], v[56:57]
	v_mul_f64 v[52:53], v[62:63], v[52:53]
	v_fma_f64 v[54:55], v[60:61], v[54:55], -v[52:53]
	;; [unrolled: 7-line block ×4, first 2 shown]
	scratch_load_b128 v[60:63], off, off offset:556 ; 16-byte Folded Reload
	s_waitcnt vmcnt(0)
	v_mul_f64 v[40:41], v[62:63], v[38:39]
	s_delay_alu instid0(VALU_DEP_1) | instskip(SKIP_1) | instid1(VALU_DEP_1)
	v_fma_f64 v[40:41], v[60:61], v[36:37], v[40:41]
	v_mul_f64 v[36:37], v[62:63], v[36:37]
	v_fma_f64 v[36:37], v[60:61], v[38:39], -v[36:37]
	scratch_load_b128 v[60:63], off, off offset:508 ; 16-byte Folded Reload
	s_waitcnt vmcnt(0)
	v_mul_f64 v[38:39], v[62:63], v[26:27]
	s_delay_alu instid0(VALU_DEP_1) | instskip(SKIP_1) | instid1(VALU_DEP_1)
	v_fma_f64 v[38:39], v[60:61], v[24:25], v[38:39]
	v_mul_f64 v[24:25], v[62:63], v[24:25]
	v_fma_f64 v[26:27], v[60:61], v[26:27], -v[24:25]
	scratch_load_b128 v[60:63], off, off offset:540 ; 16-byte Folded Reload
	v_mul_f64 v[24:25], v[166:167], v[22:23]
	s_waitcnt vmcnt(0) lgkmcnt(0)
	s_waitcnt_vscnt null, 0x0
	s_barrier
	buffer_gl0_inv
	v_fma_f64 v[24:25], v[164:165], v[20:21], v[24:25]
	v_mul_f64 v[20:21], v[166:167], v[20:21]
	s_delay_alu instid0(VALU_DEP_1) | instskip(SKIP_1) | instid1(VALU_DEP_1)
	v_fma_f64 v[20:21], v[164:165], v[22:23], -v[20:21]
	v_mul_f64 v[22:23], v[62:63], v[18:19]
	v_fma_f64 v[22:23], v[60:61], v[16:17], v[22:23]
	v_mul_f64 v[16:17], v[62:63], v[16:17]
	v_add_f64 v[62:63], v[98:99], -v[106:107]
	s_delay_alu instid0(VALU_DEP_2) | instskip(SKIP_2) | instid1(VALU_DEP_1)
	v_fma_f64 v[16:17], v[60:61], v[18:19], -v[16:17]
	v_add_f64 v[18:19], v[102:103], -v[96:97]
	v_add_f64 v[60:61], v[100:101], -v[108:109]
	v_add_f64 v[18:19], v[18:19], v[60:61]
	v_add_f64 v[60:61], v[104:105], -v[90:91]
	s_delay_alu instid0(VALU_DEP_1) | instskip(SKIP_1) | instid1(VALU_DEP_1)
	v_add_f64 v[110:111], v[60:61], v[62:63]
	v_add_f64 v[60:61], v[96:97], v[108:109]
	v_fma_f64 v[114:115], v[60:61], -0.5, v[12:13]
	v_add_f64 v[60:61], v[90:91], v[106:107]
	s_delay_alu instid0(VALU_DEP_1) | instskip(NEXT) | instid1(VALU_DEP_3)
	v_fma_f64 v[116:117], v[60:61], -0.5, v[14:15]
	v_fma_f64 v[60:61], v[118:119], s[14:15], v[114:115]
	v_fma_f64 v[114:115], v[118:119], s[12:13], v[114:115]
	s_delay_alu instid0(VALU_DEP_3) | instskip(SKIP_1) | instid1(VALU_DEP_4)
	v_fma_f64 v[62:63], v[122:123], s[12:13], v[116:117]
	v_fma_f64 v[116:117], v[122:123], s[14:15], v[116:117]
	;; [unrolled: 1-line block ×3, first 2 shown]
	s_delay_alu instid0(VALU_DEP_4) | instskip(NEXT) | instid1(VALU_DEP_4)
	v_fma_f64 v[114:115], v[120:121], s[8:9], v[114:115]
	v_fma_f64 v[62:63], v[124:125], s[8:9], v[62:63]
	s_delay_alu instid0(VALU_DEP_4) | instskip(NEXT) | instid1(VALU_DEP_4)
	v_fma_f64 v[116:117], v[124:125], s[2:3], v[116:117]
	v_fma_f64 v[60:61], v[18:19], s[16:17], v[60:61]
	s_delay_alu instid0(VALU_DEP_4) | instskip(SKIP_4) | instid1(VALU_DEP_4)
	v_fma_f64 v[114:115], v[18:19], s[16:17], v[114:115]
	v_add_f64 v[18:19], v[102:103], v[100:101]
	v_fma_f64 v[62:63], v[110:111], s[16:17], v[62:63]
	v_fma_f64 v[116:117], v[110:111], s[16:17], v[116:117]
	v_add_f64 v[110:111], v[104:105], v[98:99]
	v_fma_f64 v[18:19], v[18:19], -0.5, v[12:13]
	v_add_f64 v[12:13], v[12:13], v[96:97]
	v_add_f64 v[96:97], v[96:97], -v[102:103]
	s_delay_alu instid0(VALU_DEP_4)
	v_fma_f64 v[110:111], v[110:111], -0.5, v[14:15]
	v_add_f64 v[14:15], v[14:15], v[90:91]
	v_add_f64 v[90:91], v[90:91], -v[104:105]
	v_add_f64 v[12:13], v[12:13], v[102:103]
	v_fma_f64 v[102:103], v[120:121], s[12:13], v[18:19]
	v_fma_f64 v[18:19], v[120:121], s[14:15], v[18:19]
	v_add_f64 v[120:121], v[66:67], -v[58:59]
	v_add_f64 v[14:15], v[14:15], v[104:105]
	v_fma_f64 v[104:105], v[124:125], s[14:15], v[110:111]
	v_add_f64 v[12:13], v[12:13], v[100:101]
	v_add_f64 v[100:101], v[108:109], -v[100:101]
	v_fma_f64 v[18:19], v[118:119], s[8:9], v[18:19]
	v_add_f64 v[14:15], v[14:15], v[98:99]
	v_add_f64 v[98:99], v[106:107], -v[98:99]
	v_add_f64 v[12:13], v[12:13], v[108:109]
	v_add_f64 v[100:101], v[96:97], v[100:101]
	v_fma_f64 v[96:97], v[118:119], s[2:3], v[102:103]
	v_add_f64 v[118:119], v[68:69], -v[94:95]
	v_add_f64 v[14:15], v[14:15], v[106:107]
	v_fma_f64 v[106:107], v[124:125], s[12:13], v[110:111]
	v_add_f64 v[90:91], v[90:91], v[98:99]
	v_fma_f64 v[98:99], v[122:123], s[8:9], v[104:105]
	v_fma_f64 v[96:97], v[100:101], s[16:17], v[96:97]
	;; [unrolled: 1-line block ×3, first 2 shown]
	v_add_f64 v[18:19], v[92:93], -v[70:71]
	v_add_f64 v[104:105], v[94:95], -v[58:59]
	;; [unrolled: 1-line block ×3, first 2 shown]
	v_fma_f64 v[102:103], v[122:123], s[2:3], v[106:107]
	v_add_f64 v[122:123], v[92:93], -v[88:89]
	v_fma_f64 v[98:99], v[90:91], s[16:17], v[98:99]
	s_delay_alu instid0(VALU_DEP_3) | instskip(SKIP_1) | instid1(VALU_DEP_1)
	v_fma_f64 v[102:103], v[90:91], s[16:17], v[102:103]
	v_add_f64 v[90:91], v[88:89], -v[64:65]
	v_add_f64 v[18:19], v[18:19], v[90:91]
	v_add_f64 v[90:91], v[68:69], -v[66:67]
	s_delay_alu instid0(VALU_DEP_1) | instskip(SKIP_1) | instid1(VALU_DEP_1)
	v_add_f64 v[90:91], v[90:91], v[104:105]
	v_add_f64 v[104:105], v[70:71], v[64:65]
	v_fma_f64 v[108:109], v[104:105], -0.5, v[8:9]
	v_add_f64 v[104:105], v[66:67], v[58:59]
	s_delay_alu instid0(VALU_DEP_1) | instskip(NEXT) | instid1(VALU_DEP_3)
	v_fma_f64 v[110:111], v[104:105], -0.5, v[10:11]
	v_fma_f64 v[104:105], v[118:119], s[12:13], v[108:109]
	v_fma_f64 v[108:109], v[118:119], s[14:15], v[108:109]
	s_delay_alu instid0(VALU_DEP_3) | instskip(NEXT) | instid1(VALU_DEP_3)
	v_fma_f64 v[106:107], v[122:123], s[14:15], v[110:111]
	v_fma_f64 v[104:105], v[120:121], s[2:3], v[104:105]
	;; [unrolled: 1-line block ×3, first 2 shown]
	s_delay_alu instid0(VALU_DEP_4) | instskip(NEXT) | instid1(VALU_DEP_4)
	v_fma_f64 v[108:109], v[120:121], s[8:9], v[108:109]
	v_fma_f64 v[106:107], v[124:125], s[8:9], v[106:107]
	s_delay_alu instid0(VALU_DEP_4) | instskip(NEXT) | instid1(VALU_DEP_4)
	v_fma_f64 v[104:105], v[18:19], s[16:17], v[104:105]
	v_fma_f64 v[110:111], v[124:125], s[2:3], v[110:111]
	s_delay_alu instid0(VALU_DEP_4) | instskip(SKIP_2) | instid1(VALU_DEP_4)
	v_fma_f64 v[108:109], v[18:19], s[16:17], v[108:109]
	v_add_f64 v[18:19], v[92:93], v[88:89]
	v_fma_f64 v[106:107], v[90:91], s[16:17], v[106:107]
	v_fma_f64 v[110:111], v[90:91], s[16:17], v[110:111]
	v_add_f64 v[90:91], v[68:69], v[94:95]
	s_delay_alu instid0(VALU_DEP_4) | instskip(SKIP_2) | instid1(VALU_DEP_4)
	v_fma_f64 v[18:19], v[18:19], -0.5, v[8:9]
	v_add_f64 v[8:9], v[8:9], v[92:93]
	v_add_f64 v[92:93], v[70:71], -v[92:93]
	v_fma_f64 v[90:91], v[90:91], -0.5, v[10:11]
	v_add_f64 v[10:11], v[10:11], v[68:69]
	s_delay_alu instid0(VALU_DEP_4) | instskip(NEXT) | instid1(VALU_DEP_3)
	v_add_f64 v[8:9], v[8:9], v[70:71]
	v_fma_f64 v[70:71], v[124:125], s[12:13], v[90:91]
	s_delay_alu instid0(VALU_DEP_3) | instskip(NEXT) | instid1(VALU_DEP_3)
	v_add_f64 v[10:11], v[10:11], v[66:67]
	v_add_f64 v[8:9], v[8:9], v[64:65]
	v_add_f64 v[66:67], v[66:67], -v[68:69]
	v_add_f64 v[64:65], v[64:65], -v[88:89]
	v_fma_f64 v[68:69], v[120:121], s[14:15], v[18:19]
	v_fma_f64 v[18:19], v[120:121], s[12:13], v[18:19]
	v_add_f64 v[120:121], v[54:55], -v[44:45]
	v_add_f64 v[10:11], v[10:11], v[58:59]
	v_add_f64 v[8:9], v[8:9], v[88:89]
	v_add_f64 v[58:59], v[58:59], -v[94:95]
	v_fma_f64 v[88:89], v[124:125], s[14:15], v[90:91]
	v_add_f64 v[90:91], v[92:93], v[64:65]
	v_fma_f64 v[18:19], v[118:119], s[8:9], v[18:19]
	v_fma_f64 v[64:65], v[118:119], s[2:3], v[68:69]
	v_add_f64 v[118:119], v[48:49], -v[42:43]
	v_add_f64 v[124:125], v[56:57], -v[52:53]
	v_add_f64 v[10:11], v[10:11], v[94:95]
	v_add_f64 v[58:59], v[66:67], v[58:59]
	v_fma_f64 v[66:67], v[122:123], s[8:9], v[70:71]
	v_fma_f64 v[70:71], v[122:123], s[2:3], v[88:89]
	;; [unrolled: 1-line block ×3, first 2 shown]
	v_add_f64 v[18:19], v[50:51], -v[56:57]
	v_add_f64 v[88:89], v[42:43], -v[44:45]
	;; [unrolled: 1-line block ×3, first 2 shown]
	v_fma_f64 v[64:65], v[90:91], s[16:17], v[64:65]
	v_fma_f64 v[66:67], v[58:59], s[16:17], v[66:67]
	;; [unrolled: 1-line block ×3, first 2 shown]
	v_add_f64 v[58:59], v[46:47], -v[52:53]
	ds_store_b128 v162, v[12:15]
	ds_store_b128 v162, v[96:99] offset:176
	ds_store_b128 v162, v[60:63] offset:352
	;; [unrolled: 1-line block ×4, first 2 shown]
	ds_store_b128 v163, v[8:11]
	ds_store_b128 v163, v[104:107] offset:176
	ds_store_b128 v163, v[64:67] offset:352
	;; [unrolled: 1-line block ×4, first 2 shown]
	scratch_load_b32 v162, off, off offset:308 ; 4-byte Folded Reload
	v_add_f64 v[18:19], v[18:19], v[58:59]
	v_add_f64 v[58:59], v[48:49], -v[54:55]
	s_delay_alu instid0(VALU_DEP_1) | instskip(SKIP_1) | instid1(VALU_DEP_1)
	v_add_f64 v[58:59], v[58:59], v[88:89]
	v_add_f64 v[88:89], v[56:57], v[52:53]
	v_fma_f64 v[92:93], v[88:89], -0.5, v[4:5]
	v_add_f64 v[88:89], v[54:55], v[44:45]
	s_delay_alu instid0(VALU_DEP_1) | instskip(NEXT) | instid1(VALU_DEP_3)
	v_fma_f64 v[94:95], v[88:89], -0.5, v[6:7]
	v_fma_f64 v[88:89], v[118:119], s[12:13], v[92:93]
	v_fma_f64 v[92:93], v[118:119], s[14:15], v[92:93]
	s_delay_alu instid0(VALU_DEP_3) | instskip(SKIP_1) | instid1(VALU_DEP_4)
	v_fma_f64 v[90:91], v[122:123], s[14:15], v[94:95]
	v_fma_f64 v[94:95], v[122:123], s[12:13], v[94:95]
	;; [unrolled: 1-line block ×3, first 2 shown]
	s_delay_alu instid0(VALU_DEP_4) | instskip(NEXT) | instid1(VALU_DEP_4)
	v_fma_f64 v[92:93], v[120:121], s[8:9], v[92:93]
	v_fma_f64 v[90:91], v[124:125], s[8:9], v[90:91]
	s_delay_alu instid0(VALU_DEP_4) | instskip(NEXT) | instid1(VALU_DEP_4)
	v_fma_f64 v[94:95], v[124:125], s[2:3], v[94:95]
	v_fma_f64 v[88:89], v[18:19], s[16:17], v[88:89]
	s_delay_alu instid0(VALU_DEP_4) | instskip(SKIP_4) | instid1(VALU_DEP_4)
	v_fma_f64 v[92:93], v[18:19], s[16:17], v[92:93]
	v_add_f64 v[18:19], v[50:51], v[46:47]
	v_fma_f64 v[90:91], v[58:59], s[16:17], v[90:91]
	v_fma_f64 v[94:95], v[58:59], s[16:17], v[94:95]
	v_add_f64 v[58:59], v[48:49], v[42:43]
	v_fma_f64 v[18:19], v[18:19], -0.5, v[4:5]
	v_add_f64 v[4:5], v[4:5], v[50:51]
	v_add_f64 v[50:51], v[56:57], -v[50:51]
	s_delay_alu instid0(VALU_DEP_4) | instskip(SKIP_3) | instid1(VALU_DEP_3)
	v_fma_f64 v[58:59], v[58:59], -0.5, v[6:7]
	v_add_f64 v[6:7], v[6:7], v[48:49]
	v_add_f64 v[48:49], v[54:55], -v[48:49]
	v_add_f64 v[4:5], v[4:5], v[56:57]
	v_add_f64 v[6:7], v[6:7], v[54:55]
	v_fma_f64 v[54:55], v[124:125], s[14:15], v[58:59]
	s_delay_alu instid0(VALU_DEP_3) | instskip(SKIP_1) | instid1(VALU_DEP_4)
	v_add_f64 v[4:5], v[4:5], v[52:53]
	v_add_f64 v[52:53], v[52:53], -v[46:47]
	v_add_f64 v[6:7], v[6:7], v[44:45]
	s_delay_alu instid0(VALU_DEP_3) | instskip(SKIP_1) | instid1(VALU_DEP_4)
	v_add_f64 v[4:5], v[4:5], v[46:47]
	v_fma_f64 v[46:47], v[124:125], s[12:13], v[58:59]
	v_add_f64 v[50:51], v[50:51], v[52:53]
	v_fma_f64 v[52:53], v[122:123], s[2:3], v[54:55]
	v_add_f64 v[124:125], v[40:41], -v[22:23]
	v_add_f64 v[6:7], v[6:7], v[42:43]
	v_add_f64 v[42:43], v[44:45], -v[42:43]
	v_fma_f64 v[44:45], v[120:121], s[14:15], v[18:19]
	v_fma_f64 v[18:19], v[120:121], s[12:13], v[18:19]
	v_add_f64 v[120:121], v[36:37], -v[16:17]
	s_delay_alu instid0(VALU_DEP_4) | instskip(NEXT) | instid1(VALU_DEP_4)
	v_add_f64 v[48:49], v[48:49], v[42:43]
	v_fma_f64 v[42:43], v[118:119], s[2:3], v[44:45]
	s_delay_alu instid0(VALU_DEP_4)
	v_fma_f64 v[18:19], v[118:119], s[8:9], v[18:19]
	v_fma_f64 v[44:45], v[122:123], s[8:9], v[46:47]
	v_add_f64 v[122:123], v[38:39], -v[24:25]
	v_add_f64 v[118:119], v[26:27], -v[20:21]
	v_fma_f64 v[42:43], v[50:51], s[16:17], v[42:43]
	v_fma_f64 v[46:47], v[50:51], s[16:17], v[18:19]
	v_add_f64 v[18:19], v[38:39], -v[40:41]
	v_add_f64 v[50:51], v[24:25], -v[22:23]
	v_fma_f64 v[44:45], v[48:49], s[16:17], v[44:45]
	v_fma_f64 v[48:49], v[48:49], s[16:17], v[52:53]
	v_add_f64 v[52:53], v[20:21], -v[16:17]
	s_waitcnt vmcnt(0)
	ds_store_b128 v162, v[4:7]
	ds_store_b128 v162, v[88:91] offset:176
	ds_store_b128 v162, v[42:45] offset:352
	;; [unrolled: 1-line block ×4, first 2 shown]
	v_add_f64 v[18:19], v[18:19], v[50:51]
	v_add_f64 v[50:51], v[26:27], -v[36:37]
	scratch_load_b32 v163, off, off offset:304 ; 4-byte Folded Reload
	v_add_f64 v[56:57], v[50:51], v[52:53]
	v_add_f64 v[50:51], v[40:41], v[22:23]
	s_delay_alu instid0(VALU_DEP_1) | instskip(SKIP_1) | instid1(VALU_DEP_1)
	v_fma_f64 v[54:55], v[50:51], -0.5, v[0:1]
	v_add_f64 v[50:51], v[36:37], v[16:17]
	v_fma_f64 v[58:59], v[50:51], -0.5, v[2:3]
	s_delay_alu instid0(VALU_DEP_3) | instskip(SKIP_1) | instid1(VALU_DEP_3)
	v_fma_f64 v[50:51], v[118:119], s[14:15], v[54:55]
	v_fma_f64 v[54:55], v[118:119], s[12:13], v[54:55]
	;; [unrolled: 1-line block ×4, first 2 shown]
	s_delay_alu instid0(VALU_DEP_4) | instskip(NEXT) | instid1(VALU_DEP_4)
	v_fma_f64 v[50:51], v[120:121], s[2:3], v[50:51]
	v_fma_f64 v[54:55], v[120:121], s[8:9], v[54:55]
	s_delay_alu instid0(VALU_DEP_4) | instskip(NEXT) | instid1(VALU_DEP_4)
	v_fma_f64 v[52:53], v[124:125], s[8:9], v[52:53]
	v_fma_f64 v[58:59], v[124:125], s[2:3], v[58:59]
	;; [unrolled: 3-line block ×3, first 2 shown]
	v_add_f64 v[18:19], v[38:39], v[24:25]
	v_fma_f64 v[52:53], v[56:57], s[16:17], v[52:53]
	v_fma_f64 v[56:57], v[56:57], s[16:17], v[58:59]
	v_add_f64 v[58:59], v[26:27], v[20:21]
	s_delay_alu instid0(VALU_DEP_4) | instskip(SKIP_2) | instid1(VALU_DEP_4)
	v_fma_f64 v[18:19], v[18:19], -0.5, v[0:1]
	v_add_f64 v[0:1], v[0:1], v[40:41]
	v_add_f64 v[40:41], v[40:41], -v[38:39]
	v_fma_f64 v[58:59], v[58:59], -0.5, v[2:3]
	v_add_f64 v[2:3], v[2:3], v[36:37]
	s_delay_alu instid0(VALU_DEP_4) | instskip(NEXT) | instid1(VALU_DEP_2)
	v_add_f64 v[0:1], v[0:1], v[38:39]
	v_add_f64 v[2:3], v[2:3], v[26:27]
	v_add_f64 v[26:27], v[36:37], -v[26:27]
	s_delay_alu instid0(VALU_DEP_3)
	v_add_f64 v[0:1], v[0:1], v[24:25]
	v_fma_f64 v[36:37], v[120:121], s[12:13], v[18:19]
	v_fma_f64 v[18:19], v[120:121], s[14:15], v[18:19]
	v_add_f64 v[24:25], v[22:23], -v[24:25]
	v_add_f64 v[2:3], v[2:3], v[20:21]
	v_add_f64 v[0:1], v[0:1], v[22:23]
	v_fma_f64 v[22:23], v[124:125], s[12:13], v[58:59]
	v_fma_f64 v[36:37], v[118:119], s[2:3], v[36:37]
	v_add_f64 v[24:25], v[40:41], v[24:25]
	v_fma_f64 v[38:39], v[118:119], s[8:9], v[18:19]
	v_add_f64 v[2:3], v[2:3], v[16:17]
	v_add_f64 v[16:17], v[16:17], -v[20:21]
	v_fma_f64 v[20:21], v[124:125], s[14:15], v[58:59]
	v_fma_f64 v[22:23], v[122:123], s[2:3], v[22:23]
	s_delay_alu instid0(VALU_DEP_3) | instskip(NEXT) | instid1(VALU_DEP_3)
	v_add_f64 v[26:27], v[26:27], v[16:17]
	v_fma_f64 v[18:19], v[122:123], s[8:9], v[20:21]
	v_fma_f64 v[16:17], v[24:25], s[16:17], v[36:37]
	;; [unrolled: 1-line block ×3, first 2 shown]
	s_delay_alu instid0(VALU_DEP_4) | instskip(NEXT) | instid1(VALU_DEP_4)
	v_fma_f64 v[22:23], v[26:27], s[16:17], v[22:23]
	v_fma_f64 v[18:19], v[26:27], s[16:17], v[18:19]
	s_waitcnt vmcnt(0)
	ds_store_b128 v163, v[0:3]
	ds_store_b128 v163, v[16:19] offset:176
	ds_store_b128 v163, v[50:53] offset:352
	;; [unrolled: 1-line block ×4, first 2 shown]
	s_and_saveexec_b32 s1, s0
	s_cbranch_execz .LBB0_21
; %bb.20:
	s_clause 0x6
	scratch_load_b128 v[16:19], off, off offset:572
	scratch_load_b128 v[44:47], off, off offset:24
	;; [unrolled: 1-line block ×7, first 2 shown]
	s_waitcnt vmcnt(5)
	v_mul_f64 v[0:1], v[18:19], v[44:45]
	s_waitcnt vmcnt(4)
	v_mul_f64 v[2:3], v[22:23], v[32:33]
	;; [unrolled: 2-line block ×4, first 2 shown]
	v_mul_f64 v[8:9], v[18:19], v[46:47]
	v_mul_f64 v[10:11], v[26:27], v[50:51]
	;; [unrolled: 1-line block ×4, first 2 shown]
	v_fma_f64 v[0:1], v[16:17], v[46:47], -v[0:1]
	v_fma_f64 v[2:3], v[20:21], v[34:35], -v[2:3]
	;; [unrolled: 1-line block ×4, first 2 shown]
	v_fma_f64 v[8:9], v[16:17], v[44:45], v[8:9]
	v_fma_f64 v[10:11], v[24:25], v[48:49], v[10:11]
	v_fma_f64 v[12:13], v[20:21], v[32:33], v[12:13]
	v_fma_f64 v[14:15], v[36:37], v[40:41], v[14:15]
	v_add_f64 v[32:33], v[30:31], v[2:3]
	v_add_f64 v[16:17], v[2:3], v[4:5]
	;; [unrolled: 1-line block ×3, first 2 shown]
	v_add_f64 v[36:37], v[2:3], -v[4:5]
	v_add_f64 v[20:21], v[8:9], v[10:11]
	v_add_f64 v[24:25], v[8:9], -v[10:11]
	v_add_f64 v[22:23], v[12:13], v[14:15]
	;; [unrolled: 2-line block ×3, first 2 shown]
	v_add_f64 v[38:39], v[6:7], -v[4:5]
	v_add_f64 v[40:41], v[4:5], -v[6:7]
	;; [unrolled: 1-line block ×6, first 2 shown]
	v_fma_f64 v[16:17], v[16:17], -0.5, v[30:31]
	v_fma_f64 v[18:19], v[18:19], -0.5, v[30:31]
	v_add_f64 v[30:31], v[0:1], -v[6:7]
	v_fma_f64 v[20:21], v[20:21], -0.5, v[28:29]
	v_fma_f64 v[22:23], v[22:23], -0.5, v[28:29]
	v_add_f64 v[28:29], v[0:1], -v[2:3]
	v_add_f64 v[2:3], v[2:3], -v[0:1]
	v_add_f64 v[0:1], v[32:33], v[0:1]
	v_add_f64 v[8:9], v[34:35], v[8:9]
	;; [unrolled: 1-line block ×3, first 2 shown]
	v_fma_f64 v[32:33], v[24:25], s[14:15], v[16:17]
	v_fma_f64 v[16:17], v[24:25], s[12:13], v[16:17]
	;; [unrolled: 1-line block ×6, first 2 shown]
	v_add_f64 v[28:29], v[28:29], v[38:39]
	v_add_f64 v[38:39], v[2:3], v[40:41]
	;; [unrolled: 1-line block ×4, first 2 shown]
	v_fma_f64 v[50:51], v[30:31], s[14:15], v[22:23]
	v_fma_f64 v[22:23], v[30:31], s[12:13], v[22:23]
	v_add_f64 v[40:41], v[42:43], v[44:45]
	v_fma_f64 v[8:9], v[26:27], s[2:3], v[32:33]
	v_fma_f64 v[10:11], v[26:27], s[8:9], v[16:17]
	v_fma_f64 v[16:17], v[24:25], s[2:3], v[34:35]
	v_fma_f64 v[18:19], v[24:25], s[8:9], v[18:19]
	v_fma_f64 v[24:25], v[30:31], s[2:3], v[48:49]
	v_fma_f64 v[20:21], v[30:31], s[8:9], v[20:21]
	v_add_f64 v[2:3], v[0:1], v[4:5]
	v_add_f64 v[0:1], v[6:7], v[14:15]
	v_fma_f64 v[26:27], v[36:37], s[2:3], v[50:51]
	v_fma_f64 v[22:23], v[36:37], s[8:9], v[22:23]
	;; [unrolled: 1-line block ×8, first 2 shown]
	scratch_load_b32 v20, off, off offset:264 ; 4-byte Folded Reload
	v_fma_f64 v[8:9], v[40:41], s[16:17], v[26:27]
	v_fma_f64 v[4:5], v[40:41], s[16:17], v[22:23]
	s_waitcnt vmcnt(0)
	v_lshlrev_b32_e32 v20, 4, v20
	ds_store_b128 v20, v[0:3] offset:17600
	ds_store_b128 v20, v[16:19] offset:17776
	;; [unrolled: 1-line block ×5, first 2 shown]
.LBB0_21:
	s_or_b32 exec_lo, exec_lo, s1
	s_waitcnt lgkmcnt(0)
	s_barrier
	buffer_gl0_inv
	ds_load_b128 v[4:7], v134 offset:2640
	ds_load_b128 v[8:11], v134 offset:3520
	;; [unrolled: 1-line block ×17, first 2 shown]
	s_clause 0x1
	scratch_load_b128 v[126:129], off, off offset:332
	scratch_load_b128 v[122:125], off, off offset:316
	s_mov_b32 s8, 0x37e14327
	s_mov_b32 s0, 0x36b3c0b5
	;; [unrolled: 1-line block ×6, first 2 shown]
	s_waitcnt lgkmcnt(16)
	v_mul_f64 v[68:69], v[86:87], v[6:7]
	v_mul_f64 v[70:71], v[86:87], v[4:5]
	s_waitcnt lgkmcnt(15)
	v_mul_f64 v[88:89], v[86:87], v[10:11]
	v_mul_f64 v[86:87], v[86:87], v[8:9]
	;; [unrolled: 3-line block ×6, first 2 shown]
	v_mul_f64 v[100:101], v[170:171], v[26:27]
	v_mul_f64 v[102:103], v[170:171], v[24:25]
	s_waitcnt lgkmcnt(7)
	v_mul_f64 v[108:109], v[150:151], v[38:39]
	v_mul_f64 v[110:111], v[150:151], v[36:37]
	s_waitcnt lgkmcnt(5)
	v_mul_f64 v[114:115], v[74:75], v[46:47]
	s_waitcnt lgkmcnt(3)
	v_mul_f64 v[116:117], v[78:79], v[54:55]
	v_mul_f64 v[118:119], v[182:183], v[30:31]
	;; [unrolled: 1-line block ×3, first 2 shown]
	s_mov_b32 s2, 0x429ad128
	s_mov_b32 s3, 0xbfebfeb5
	;; [unrolled: 1-line block ×12, first 2 shown]
	v_fma_f64 v[68:69], v[84:85], v[4:5], v[68:69]
	v_fma_f64 v[70:71], v[84:85], v[6:7], -v[70:71]
	ds_load_b128 v[4:7], v134 offset:8800
	v_fma_f64 v[88:89], v[84:85], v[8:9], v[88:89]
	v_fma_f64 v[84:85], v[84:85], v[10:11], -v[86:87]
	ds_load_b128 v[8:11], v134 offset:9680
	v_mul_f64 v[86:87], v[74:75], v[44:45]
	v_fma_f64 v[90:91], v[80:81], v[12:13], v[90:91]
	v_fma_f64 v[92:93], v[80:81], v[14:15], -v[92:93]
	s_waitcnt lgkmcnt(4)
	v_mul_f64 v[12:13], v[178:179], v[58:59]
	v_mul_f64 v[14:15], v[178:179], v[56:57]
	v_fma_f64 v[94:95], v[80:81], v[16:17], v[94:95]
	v_fma_f64 v[80:81], v[80:81], v[18:19], -v[82:83]
	v_mul_f64 v[16:17], v[186:187], v[50:51]
	s_waitcnt lgkmcnt(2)
	v_mul_f64 v[18:19], v[190:191], v[66:67]
	v_fma_f64 v[20:21], v[168:169], v[20:21], v[96:97]
	v_fma_f64 v[22:23], v[168:169], v[22:23], -v[98:99]
	v_mul_f64 v[82:83], v[190:191], v[64:65]
	v_mul_f64 v[96:97], v[186:187], v[48:49]
	;; [unrolled: 1-line block ×3, first 2 shown]
	v_fma_f64 v[32:33], v[148:149], v[32:33], v[104:105]
	v_fma_f64 v[34:35], v[148:149], v[34:35], -v[106:107]
	v_fma_f64 v[24:25], v[168:169], v[24:25], v[100:101]
	v_fma_f64 v[26:27], v[168:169], v[26:27], -v[102:103]
	s_waitcnt lgkmcnt(1)
	v_mul_f64 v[100:101], v[74:75], v[6:7]
	v_mul_f64 v[74:75], v[74:75], v[4:5]
	;; [unrolled: 1-line block ×3, first 2 shown]
	v_fma_f64 v[36:37], v[148:149], v[36:37], v[108:109]
	v_fma_f64 v[38:39], v[148:149], v[38:39], -v[110:111]
	v_mul_f64 v[78:79], v[78:79], v[60:61]
	v_fma_f64 v[44:45], v[72:73], v[44:45], v[114:115]
	v_fma_f64 v[28:29], v[180:181], v[28:29], v[118:119]
	v_fma_f64 v[30:31], v[180:181], v[30:31], -v[120:121]
	v_fma_f64 v[52:53], v[76:77], v[52:53], v[116:117]
	v_fma_f64 v[46:47], v[72:73], v[46:47], -v[86:87]
	;; [unrolled: 2-line block ×3, first 2 shown]
	v_fma_f64 v[48:49], v[184:185], v[48:49], v[16:17]
	v_fma_f64 v[64:65], v[188:189], v[64:65], v[18:19]
	ds_load_b128 v[12:15], v134
	ds_load_b128 v[16:19], v134 offset:880
	v_add_f64 v[110:111], v[92:93], v[22:23]
	v_fma_f64 v[66:67], v[188:189], v[66:67], -v[82:83]
	v_fma_f64 v[50:51], v[184:185], v[50:51], -v[96:97]
	;; [unrolled: 1-line block ×3, first 2 shown]
	v_add_f64 v[82:83], v[68:69], v[32:33]
	v_add_f64 v[96:97], v[70:71], v[34:35]
	;; [unrolled: 1-line block ×3, first 2 shown]
	v_add_f64 v[20:21], v[90:91], -v[20:21]
	v_fma_f64 v[4:5], v[72:73], v[4:5], v[100:101]
	v_fma_f64 v[6:7], v[72:73], v[6:7], -v[74:75]
	v_fma_f64 v[60:61], v[76:77], v[60:61], v[102:103]
	v_add_f64 v[72:73], v[88:89], v[36:37]
	v_add_f64 v[74:75], v[84:85], v[38:39]
	v_fma_f64 v[62:63], v[76:77], v[62:63], -v[78:79]
	v_add_f64 v[76:77], v[94:95], v[24:25]
	v_add_f64 v[78:79], v[80:81], v[26:27]
	v_add_f64 v[22:23], v[92:93], -v[22:23]
	v_add_f64 v[32:33], v[68:69], -v[32:33]
	;; [unrolled: 1-line block ×7, first 2 shown]
	s_waitcnt vmcnt(0) lgkmcnt(0)
	s_barrier
	buffer_gl0_inv
	v_add_f64 v[102:103], v[56:57], v[48:49]
	v_add_f64 v[48:49], v[56:57], -v[48:49]
	v_add_f64 v[100:101], v[30:31], v[66:67]
	v_add_f64 v[30:31], v[30:31], -v[66:67]
	;; [unrolled: 2-line block ×4, first 2 shown]
	v_add_f64 v[60:61], v[76:77], v[72:73]
	v_add_f64 v[62:63], v[78:79], v[74:75]
	v_add_f64 v[114:115], v[4:5], -v[24:25]
	s_delay_alu instid0(VALU_DEP_4) | instskip(NEXT) | instid1(VALU_DEP_4)
	v_add_f64 v[116:117], v[6:7], -v[26:27]
	v_add_f64 v[60:61], v[68:69], v[60:61]
	s_delay_alu instid0(VALU_DEP_4) | instskip(SKIP_4) | instid1(VALU_DEP_4)
	v_add_f64 v[62:63], v[70:71], v[62:63]
	v_mul_f64 v[104:105], v[128:129], v[10:11]
	v_mul_f64 v[106:107], v[128:129], v[8:9]
	;; [unrolled: 1-line block ×4, first 2 shown]
	v_fma_f64 v[8:9], v[126:127], v[8:9], v[104:105]
	s_delay_alu instid0(VALU_DEP_4) | instskip(NEXT) | instid1(VALU_DEP_4)
	v_fma_f64 v[10:11], v[126:127], v[10:11], -v[106:107]
	v_fma_f64 v[40:41], v[122:123], v[40:41], v[108:109]
	s_delay_alu instid0(VALU_DEP_4)
	v_fma_f64 v[42:43], v[122:123], v[42:43], -v[86:87]
	v_add_f64 v[86:87], v[28:29], v[64:65]
	v_add_f64 v[104:105], v[58:59], v[50:51]
	;; [unrolled: 1-line block ×4, first 2 shown]
	v_add_f64 v[44:45], v[52:53], -v[44:45]
	v_add_f64 v[46:47], v[54:55], -v[46:47]
	v_add_f64 v[52:53], v[98:99], v[82:83]
	v_add_f64 v[54:55], v[110:111], v[96:97]
	v_add_f64 v[50:51], v[58:59], -v[50:51]
	v_add_f64 v[28:29], v[28:29], -v[64:65]
	v_add_f64 v[56:57], v[8:9], v[40:41]
	v_add_f64 v[58:59], v[10:11], v[42:43]
	v_add_f64 v[8:9], v[40:41], -v[8:9]
	v_add_f64 v[10:11], v[42:43], -v[10:11]
	;; [unrolled: 1-line block ×4, first 2 shown]
	v_add_f64 v[64:65], v[102:103], v[86:87]
	v_add_f64 v[66:67], v[104:105], v[100:101]
	v_add_f64 v[80:81], v[82:83], -v[106:107]
	v_add_f64 v[82:83], v[96:97], -v[108:109]
	;; [unrolled: 1-line block ×6, first 2 shown]
	v_add_f64 v[52:53], v[106:107], v[52:53]
	v_add_f64 v[54:55], v[108:109], v[54:55]
	;; [unrolled: 1-line block ×4, first 2 shown]
	v_add_f64 v[20:21], v[20:21], -v[32:33]
	v_add_f64 v[22:23], v[22:23], -v[34:35]
	;; [unrolled: 1-line block ×8, first 2 shown]
	v_add_f64 v[108:109], v[4:5], v[24:25]
	v_add_f64 v[110:111], v[6:7], v[26:27]
	v_add_f64 v[24:25], v[24:25], -v[36:37]
	v_add_f64 v[26:27], v[26:27], -v[38:39]
	;; [unrolled: 1-line block ×10, first 2 shown]
	v_add_f64 v[122:123], v[8:9], v[48:49]
	v_add_f64 v[124:125], v[10:11], v[50:51]
	;; [unrolled: 1-line block ×4, first 2 shown]
	v_add_f64 v[56:57], v[56:57], -v[102:103]
	v_add_f64 v[58:59], v[58:59], -v[104:105]
	;; [unrolled: 1-line block ×6, first 2 shown]
	v_mul_f64 v[80:81], v[80:81], s[8:9]
	v_mul_f64 v[82:83], v[82:83], s[8:9]
	;; [unrolled: 1-line block ×4, first 2 shown]
	v_add_f64 v[4:5], v[12:13], v[52:53]
	v_add_f64 v[6:7], v[14:15], v[54:55]
	v_mul_f64 v[94:95], v[94:95], s[12:13]
	v_mul_f64 v[96:97], v[96:97], s[12:13]
	v_add_f64 v[32:33], v[90:91], v[32:33]
	v_add_f64 v[34:35], v[92:93], v[34:35]
	v_mul_f64 v[90:91], v[20:21], s[2:3]
	v_mul_f64 v[92:93], v[22:23], s[2:3]
	v_add_f64 v[12:13], v[28:29], -v[8:9]
	v_add_f64 v[14:15], v[30:31], -v[10:11]
	v_mul_f64 v[72:73], v[72:73], s[8:9]
	v_mul_f64 v[74:75], v[74:75], s[8:9]
	;; [unrolled: 1-line block ×4, first 2 shown]
	v_add_f64 v[8:9], v[16:17], v[60:61]
	v_add_f64 v[10:11], v[18:19], v[62:63]
	;; [unrolled: 1-line block ×4, first 2 shown]
	v_mul_f64 v[36:37], v[114:115], s[12:13]
	v_mul_f64 v[38:39], v[116:117], s[12:13]
	;; [unrolled: 1-line block ×6, first 2 shown]
	v_add_f64 v[28:29], v[122:123], v[28:29]
	v_add_f64 v[30:31], v[124:125], v[30:31]
	;; [unrolled: 1-line block ×4, first 2 shown]
	v_mul_f64 v[114:115], v[56:57], s[0:1]
	v_mul_f64 v[116:117], v[58:59], s[0:1]
	;; [unrolled: 1-line block ×6, first 2 shown]
	v_fma_f64 v[84:85], v[84:85], s[0:1], v[80:81]
	v_fma_f64 v[88:89], v[88:89], s[0:1], v[82:83]
	v_fma_f64 v[126:127], v[40:41], s[14:15], -v[126:127]
	v_fma_f64 v[128:129], v[42:43], s[14:15], -v[128:129]
	v_fma_f64 v[52:53], v[52:53], s[16:17], v[4:5]
	v_fma_f64 v[54:55], v[54:55], s[16:17], v[6:7]
	v_fma_f64 v[40:41], v[40:41], s[20:21], -v[80:81]
	v_fma_f64 v[42:43], v[42:43], s[20:21], -v[82:83]
	;; [unrolled: 4-line block ×3, first 2 shown]
	v_fma_f64 v[20:21], v[20:21], s[2:3], -v[94:95]
	v_fma_f64 v[22:23], v[22:23], s[2:3], -v[96:97]
	v_fma_f64 v[76:77], v[76:77], s[0:1], v[72:73]
	v_fma_f64 v[78:79], v[78:79], s[0:1], v[74:75]
	v_fma_f64 v[90:91], v[98:99], s[14:15], -v[130:131]
	v_fma_f64 v[92:93], v[106:107], s[14:15], -v[132:133]
	v_fma_f64 v[60:61], v[60:61], s[16:17], v[8:9]
	v_fma_f64 v[62:63], v[62:63], s[16:17], v[10:11]
	;; [unrolled: 4-line block ×3, first 2 shown]
	v_fma_f64 v[24:25], v[24:25], s[2:3], -v[36:37]
	v_fma_f64 v[26:27], v[26:27], s[2:3], -v[38:39]
	;; [unrolled: 1-line block ×4, first 2 shown]
	v_fma_f64 v[56:57], v[56:57], s[0:1], v[86:87]
	v_fma_f64 v[58:59], v[58:59], s[0:1], v[100:101]
	s_mov_b32 s0, 0x37c3f68c
	s_mov_b32 s1, 0xbfdc38aa
	v_fma_f64 v[70:71], v[118:119], s[20:21], -v[86:87]
	v_fma_f64 v[86:87], v[120:121], s[20:21], -v[100:101]
	v_fma_f64 v[98:99], v[12:13], s[22:23], v[102:103]
	v_fma_f64 v[100:101], v[14:15], s[22:23], v[104:105]
	v_fma_f64 v[12:13], v[12:13], s[18:19], -v[122:123]
	v_fma_f64 v[14:15], v[14:15], s[18:19], -v[124:125]
	;; [unrolled: 1-line block ×4, first 2 shown]
	v_fma_f64 v[64:65], v[64:65], s[16:17], v[0:1]
	v_fma_f64 v[66:67], v[66:67], s[16:17], v[2:3]
	v_add_f64 v[84:85], v[84:85], v[52:53]
	v_add_f64 v[88:89], v[88:89], v[54:55]
	;; [unrolled: 1-line block ×6, first 2 shown]
	v_fma_f64 v[52:53], v[34:35], s[0:1], v[82:83]
	v_fma_f64 v[54:55], v[32:33], s[0:1], v[80:81]
	v_fma_f64 v[46:47], v[34:35], s[0:1], v[46:47]
	v_fma_f64 v[44:45], v[32:33], s[0:1], v[44:45]
	v_fma_f64 v[34:35], v[34:35], s[0:1], v[22:23]
	v_fma_f64 v[32:33], v[32:33], s[0:1], v[20:21]
	v_fma_f64 v[102:103], v[120:121], s[14:15], -v[116:117]
	v_fma_f64 v[68:69], v[118:119], s[14:15], -v[114:115]
	v_add_f64 v[76:77], v[76:77], v[60:61]
	v_add_f64 v[78:79], v[78:79], v[62:63]
	v_add_f64 v[80:81], v[90:91], v[60:61]
	v_add_f64 v[82:83], v[92:93], v[62:63]
	v_add_f64 v[60:61], v[72:73], v[60:61]
	v_add_f64 v[62:63], v[74:75], v[62:63]
	v_fma_f64 v[72:73], v[18:19], s[0:1], v[96:97]
	v_fma_f64 v[74:75], v[16:17], s[0:1], v[94:95]
	v_fma_f64 v[90:91], v[18:19], s[0:1], v[36:37]
	v_fma_f64 v[92:93], v[16:17], s[0:1], v[38:39]
	v_fma_f64 v[94:95], v[18:19], s[0:1], v[26:27]
	v_fma_f64 v[96:97], v[16:17], s[0:1], v[24:25]
	s_mov_b32 s3, 0x3febb67a
	v_fma_f64 v[98:99], v[28:29], s[0:1], v[98:99]
	v_fma_f64 v[100:101], v[30:31], s[0:1], v[100:101]
	;; [unrolled: 1-line block ×6, first 2 shown]
	v_add_f64 v[108:109], v[56:57], v[64:65]
	v_add_f64 v[110:111], v[58:59], v[66:67]
	;; [unrolled: 1-line block ×4, first 2 shown]
	s_mov_b32 s0, 0xe8584caa
	s_mov_b32 s1, 0xbfebb67a
	;; [unrolled: 1-line block ×3, first 2 shown]
	v_add_f64 v[12:13], v[52:53], v[84:85]
	v_add_f64 v[14:15], v[88:89], -v[54:55]
	v_add_f64 v[16:17], v[46:47], v[40:41]
	v_add_f64 v[18:19], v[42:43], -v[44:45]
	v_add_f64 v[20:21], v[104:105], -v[34:35]
	v_add_f64 v[22:23], v[32:33], v[106:107]
	v_add_f64 v[24:25], v[34:35], v[104:105]
	v_add_f64 v[26:27], v[106:107], -v[32:33]
	v_add_f64 v[28:29], v[40:41], -v[46:47]
	v_add_f64 v[30:31], v[44:45], v[42:43]
	v_add_f64 v[32:33], v[84:85], -v[52:53]
	v_add_f64 v[34:35], v[54:55], v[88:89]
	v_add_f64 v[114:115], v[68:69], v[64:65]
	v_add_f64 v[102:103], v[102:103], v[66:67]
	v_add_f64 v[36:37], v[72:73], v[76:77]
	v_add_f64 v[38:39], v[78:79], -v[74:75]
	v_add_f64 v[40:41], v[90:91], v[60:61]
	v_add_f64 v[42:43], v[62:63], -v[92:93]
	v_add_f64 v[44:45], v[80:81], -v[94:95]
	v_add_f64 v[46:47], v[96:97], v[82:83]
	v_add_f64 v[48:49], v[94:95], v[80:81]
	v_add_f64 v[50:51], v[82:83], -v[96:97]
	v_add_f64 v[52:53], v[60:61], -v[90:91]
	v_add_f64 v[54:55], v[92:93], v[62:63]
	v_add_f64 v[56:57], v[76:77], -v[72:73]
	v_add_f64 v[58:59], v[74:75], v[78:79]
	ds_store_b128 v134, v[4:7]
	ds_store_b128 v134, v[12:15] offset:880
	ds_store_b128 v134, v[16:19] offset:1760
	;; [unrolled: 1-line block ×13, first 2 shown]
	scratch_load_b32 v4, off, off offset:312 ; 4-byte Folded Reload
	v_add_f64 v[60:61], v[100:101], v[108:109]
	v_add_f64 v[62:63], v[110:111], -v[98:99]
	v_add_f64 v[64:65], v[120:121], v[116:117]
	v_add_f64 v[66:67], v[86:87], -v[122:123]
	v_add_f64 v[68:69], v[114:115], -v[124:125]
	v_add_f64 v[70:71], v[118:119], v[102:103]
	v_add_f64 v[72:73], v[124:125], v[114:115]
	v_add_f64 v[74:75], v[102:103], -v[118:119]
	v_add_f64 v[76:77], v[116:117], -v[120:121]
	v_add_f64 v[78:79], v[122:123], v[86:87]
	v_add_f64 v[80:81], v[108:109], -v[100:101]
	v_add_f64 v[82:83], v[98:99], v[110:111]
	s_waitcnt vmcnt(0)
	ds_store_b128 v4, v[0:3] offset:12320
	ds_store_b128 v4, v[60:63] offset:13200
	;; [unrolled: 1-line block ×7, first 2 shown]
	s_waitcnt lgkmcnt(0)
	s_barrier
	buffer_gl0_inv
	ds_load_b128 v[0:3], v134 offset:6160
	ds_load_b128 v[4:7], v134 offset:12320
	;; [unrolled: 1-line block ×14, first 2 shown]
	s_clause 0x1
	scratch_load_b128 v[118:121], off, off offset:268
	scratch_load_b128 v[122:125], off, off offset:284
	ds_load_b128 v[56:59], v134 offset:17600
	s_waitcnt lgkmcnt(12)
	v_mul_f64 v[68:69], v[198:199], v[10:11]
	s_waitcnt lgkmcnt(11)
	v_mul_f64 v[70:71], v[202:203], v[14:15]
	v_mul_f64 v[72:73], v[198:199], v[8:9]
	;; [unrolled: 1-line block ×3, first 2 shown]
	s_waitcnt lgkmcnt(10)
	v_mul_f64 v[76:77], v[206:207], v[18:19]
	s_waitcnt lgkmcnt(9)
	v_mul_f64 v[78:79], v[210:211], v[22:23]
	v_mul_f64 v[80:81], v[206:207], v[16:17]
	;; [unrolled: 1-line block ×3, first 2 shown]
	s_waitcnt lgkmcnt(7)
	v_mul_f64 v[84:85], v[214:215], v[30:31]
	v_mul_f64 v[86:87], v[218:219], v[26:27]
	;; [unrolled: 1-line block ×4, first 2 shown]
	s_waitcnt lgkmcnt(6)
	v_mul_f64 v[92:93], v[222:223], v[34:35]
	s_waitcnt lgkmcnt(5)
	v_mul_f64 v[94:95], v[226:227], v[38:39]
	v_mul_f64 v[96:97], v[222:223], v[32:33]
	;; [unrolled: 1-line block ×3, first 2 shown]
	s_waitcnt lgkmcnt(2)
	v_mul_f64 v[100:101], v[230:231], v[50:51]
	v_mul_f64 v[102:103], v[234:235], v[42:43]
	;; [unrolled: 1-line block ×4, first 2 shown]
	s_waitcnt lgkmcnt(1)
	v_mul_f64 v[108:109], v[238:239], v[54:55]
	s_waitcnt lgkmcnt(0)
	v_mul_f64 v[110:111], v[242:243], v[58:59]
	v_mul_f64 v[114:115], v[238:239], v[52:53]
	;; [unrolled: 1-line block ×3, first 2 shown]
	v_fma_f64 v[68:69], v[196:197], v[8:9], v[68:69]
	v_fma_f64 v[70:71], v[200:201], v[12:13], v[70:71]
	v_fma_f64 v[72:73], v[196:197], v[10:11], -v[72:73]
	v_fma_f64 v[74:75], v[200:201], v[14:15], -v[74:75]
	v_fma_f64 v[76:77], v[204:205], v[16:17], v[76:77]
	v_fma_f64 v[78:79], v[208:209], v[20:21], v[78:79]
	v_fma_f64 v[80:81], v[204:205], v[18:19], -v[80:81]
	v_fma_f64 v[82:83], v[208:209], v[22:23], -v[82:83]
	;; [unrolled: 4-line block ×6, first 2 shown]
	ds_load_b128 v[8:11], v134 offset:1760
	ds_load_b128 v[12:15], v134 offset:2640
	v_add_f64 v[48:49], v[68:69], v[70:71]
	v_add_f64 v[50:51], v[72:73], v[74:75]
	;; [unrolled: 1-line block ×4, first 2 shown]
	s_waitcnt lgkmcnt(0)
	v_add_f64 v[126:127], v[12:13], v[28:29]
	v_add_f64 v[56:57], v[28:29], v[84:85]
	;; [unrolled: 1-line block ×4, first 2 shown]
	v_add_f64 v[128:129], v[24:25], -v[86:87]
	v_add_f64 v[100:101], v[26:27], v[88:89]
	v_add_f64 v[132:133], v[28:29], -v[84:85]
	v_add_f64 v[102:103], v[30:31], v[90:91]
	;; [unrolled: 2-line block ×6, first 2 shown]
	v_add_f64 v[155:156], v[46:47], v[38:39]
	v_add_f64 v[153:154], v[38:39], -v[98:99]
	v_add_f64 v[157:158], v[36:37], -v[96:97]
	v_fma_f64 v[52:53], v[52:53], -0.5, v[8:9]
	v_fma_f64 v[54:55], v[54:55], -0.5, v[10:11]
	v_add_f64 v[36:37], v[126:127], v[84:85]
	v_fma_f64 v[56:57], v[56:57], -0.5, v[12:13]
	v_fma_f64 v[58:59], v[58:59], -0.5, v[14:15]
	s_waitcnt vmcnt(1)
	v_mul_f64 v[60:61], v[120:121], v[2:3]
	s_waitcnt vmcnt(0)
	v_mul_f64 v[62:63], v[124:125], v[6:7]
	v_mul_f64 v[64:65], v[120:121], v[0:1]
	;; [unrolled: 1-line block ×3, first 2 shown]
	v_add_f64 v[120:121], v[38:39], v[98:99]
	v_add_f64 v[124:125], v[80:81], -v[82:83]
	v_add_f64 v[80:81], v[10:11], v[80:81]
	v_add_f64 v[38:39], v[130:131], v[86:87]
	v_fma_f64 v[60:61], v[118:119], v[0:1], v[60:61]
	v_fma_f64 v[62:63], v[122:123], v[4:5], v[62:63]
	v_fma_f64 v[64:65], v[118:119], v[2:3], -v[64:65]
	v_fma_f64 v[66:67], v[122:123], v[6:7], -v[66:67]
	ds_load_b128 v[0:3], v134
	ds_load_b128 v[4:7], v134 offset:880
	ds_load_b128 v[16:19], v134 offset:3520
	;; [unrolled: 1-line block ×3, first 2 shown]
	v_add_f64 v[118:119], v[72:73], -v[74:75]
	v_add_f64 v[122:123], v[8:9], v[76:77]
	v_add_f64 v[76:77], v[76:77], -v[78:79]
	v_add_f64 v[10:11], v[80:81], v[82:83]
	v_fma_f64 v[28:29], v[124:125], s[0:1], v[52:53]
	s_waitcnt lgkmcnt(2)
	v_add_f64 v[114:115], v[4:5], v[68:69]
	v_add_f64 v[72:73], v[6:7], v[72:73]
	v_add_f64 v[68:69], v[68:69], -v[70:71]
	v_fma_f64 v[48:49], v[48:49], -0.5, v[4:5]
	v_fma_f64 v[50:51], v[50:51], -0.5, v[6:7]
	s_waitcnt lgkmcnt(1)
	v_fma_f64 v[100:101], v[100:101], -0.5, v[16:17]
	v_fma_f64 v[102:103], v[102:103], -0.5, v[18:19]
	v_add_f64 v[135:136], v[16:17], v[26:27]
	v_add_f64 v[139:140], v[18:19], v[30:31]
	s_waitcnt lgkmcnt(0)
	v_add_f64 v[143:144], v[20:21], v[32:33]
	v_add_f64 v[147:148], v[22:23], v[34:35]
	v_fma_f64 v[106:107], v[106:107], -0.5, v[20:21]
	v_fma_f64 v[110:111], v[110:111], -0.5, v[22:23]
	v_add_f64 v[104:105], v[0:1], v[60:61]
	v_add_f64 v[40:41], v[60:61], v[62:63]
	v_add_f64 v[60:61], v[60:61], -v[62:63]
	v_add_f64 v[42:43], v[64:65], v[66:67]
	v_add_f64 v[108:109], v[64:65], -v[66:67]
	v_add_f64 v[64:65], v[2:3], v[64:65]
	v_fma_f64 v[32:33], v[124:125], s[2:3], v[52:53]
	v_add_f64 v[8:9], v[122:123], v[78:79]
	v_fma_f64 v[30:31], v[76:77], s[2:3], v[54:55]
	v_fma_f64 v[34:35], v[76:77], s[0:1], v[54:55]
	v_add_f64 v[4:5], v[114:115], v[70:71]
	v_fma_f64 v[114:115], v[120:121], -0.5, v[46:47]
	v_add_f64 v[6:7], v[72:73], v[74:75]
	v_fma_f64 v[24:25], v[118:119], s[2:3], v[48:49]
	v_fma_f64 v[26:27], v[68:69], s[0:1], v[50:51]
	;; [unrolled: 1-line block ×7, first 2 shown]
	v_add_f64 v[48:49], v[135:136], v[88:89]
	v_add_f64 v[50:51], v[139:140], v[90:91]
	v_fma_f64 v[68:69], v[145:146], s[2:3], v[106:107]
	v_fma_f64 v[70:71], v[149:150], s[0:1], v[110:111]
	v_fma_f64 v[40:41], v[40:41], -0.5, v[0:1]
	v_add_f64 v[0:1], v[104:105], v[62:63]
	v_fma_f64 v[42:43], v[42:43], -0.5, v[2:3]
	v_fma_f64 v[104:105], v[116:117], -0.5, v[44:45]
	v_add_f64 v[2:3], v[64:65], v[66:67]
	v_fma_f64 v[44:45], v[128:129], s[2:3], v[56:57]
	v_add_f64 v[62:63], v[147:148], v[94:95]
	v_add_f64 v[72:73], v[151:152], v[96:97]
	;; [unrolled: 1-line block ×3, first 2 shown]
	v_fma_f64 v[64:65], v[145:146], s[0:1], v[106:107]
	v_fma_f64 v[66:67], v[149:150], s[2:3], v[110:111]
	;; [unrolled: 1-line block ×10, first 2 shown]
	v_add_f64 v[60:61], v[143:144], v[92:93]
	v_fma_f64 v[56:57], v[137:138], s[2:3], v[100:101]
	v_fma_f64 v[58:59], v[141:142], s[0:1], v[102:103]
	;; [unrolled: 1-line block ×4, first 2 shown]
	ds_store_b128 v134, v[0:3]
	ds_store_b128 v134, v[4:7] offset:880
	ds_store_b128 v134, v[8:11] offset:1760
	;; [unrolled: 1-line block ×20, first 2 shown]
	s_waitcnt lgkmcnt(0)
	s_barrier
	buffer_gl0_inv
	ds_load_b128 v[0:3], v134
	ds_load_b128 v[4:7], v134 offset:1680
	ds_load_b128 v[8:11], v134 offset:3360
	;; [unrolled: 1-line block ×3, first 2 shown]
	s_clause 0x1
	scratch_load_b128 v[94:97], off, off offset:88
	scratch_load_b64 v[20:21], off, off offset:80
	ds_load_b128 v[16:19], v134 offset:6720
	ds_load_b128 v[24:27], v134 offset:10080
	;; [unrolled: 1-line block ×4, first 2 shown]
	s_mov_b32 s2, 0x33a4aea8
	s_mov_b32 s3, 0x3f4c5edd
	s_mul_hi_u32 s1, s4, 0x69
	scratch_load_b32 v162, off, off offset:300 ; 4-byte Folded Reload
	s_waitcnt vmcnt(2) lgkmcnt(7)
	v_mul_f64 v[44:45], v[96:97], v[2:3]
	v_mul_f64 v[46:47], v[96:97], v[0:1]
	scratch_load_b128 v[96:99], off, off offset:104 ; 16-byte Folded Reload
	s_waitcnt vmcnt(2)
	v_mov_b32_e32 v70, v20
	ds_load_b128 v[20:23], v134 offset:8400
	v_mad_u64_u32 v[48:49], null, s6, v70, 0
	s_waitcnt vmcnt(1)
	v_mad_u64_u32 v[54:55], null, s4, v162, 0
	v_fma_f64 v[0:1], v[94:95], v[0:1], v[44:45]
	v_fma_f64 v[2:3], v[94:95], v[2:3], -v[46:47]
	s_delay_alu instid0(VALU_DEP_2) | instskip(NEXT) | instid1(VALU_DEP_2)
	v_mul_f64 v[0:1], v[0:1], s[2:3]
	v_mul_f64 v[2:3], v[2:3], s[2:3]
	s_waitcnt vmcnt(0) lgkmcnt(7)
	v_mul_f64 v[50:51], v[98:99], v[6:7]
	v_mul_f64 v[52:53], v[98:99], v[4:5]
	scratch_load_b128 v[98:101], off, off offset:120 ; 16-byte Folded Reload
	ds_load_b128 v[36:39], v134 offset:15120
	ds_load_b128 v[40:43], v134 offset:16800
	s_clause 0x2
	scratch_load_b128 v[118:121], off, off offset:216
	scratch_load_b128 v[114:117], off, off offset:200
	;; [unrolled: 1-line block ×3, first 2 shown]
	v_mad_u64_u32 v[68:69], null, s7, v70, v[49:50]
	v_fma_f64 v[4:5], v[96:97], v[4:5], v[50:51]
	v_fma_f64 v[6:7], v[96:97], v[6:7], -v[52:53]
	s_delay_alu instid0(VALU_DEP_3) | instskip(NEXT) | instid1(VALU_DEP_1)
	v_mov_b32_e32 v49, v68
	v_lshlrev_b64 v[44:45], 4, v[48:49]
	s_delay_alu instid0(VALU_DEP_1) | instskip(NEXT) | instid1(VALU_DEP_1)
	v_add_co_u32 v44, s0, s10, v44
	v_add_co_ci_u32_e64 v45, s0, s11, v45, s0
	v_mul_f64 v[4:5], v[4:5], s[2:3]
	v_mul_f64 v[6:7], v[6:7], s[2:3]
	s_waitcnt vmcnt(3) lgkmcnt(8)
	v_mul_f64 v[56:57], v[100:101], v[10:11]
	v_mul_f64 v[58:59], v[100:101], v[8:9]
	scratch_load_b128 v[100:103], off, off offset:136 ; 16-byte Folded Reload
	s_waitcnt vmcnt(3) lgkmcnt(7)
	v_mul_f64 v[60:61], v[120:121], v[14:15]
	v_mul_f64 v[62:63], v[120:121], v[12:13]
	scratch_load_b128 v[120:123], off, off offset:232 ; 16-byte Folded Reload
	s_waitcnt vmcnt(2) lgkmcnt(2)
	v_mul_f64 v[72:73], v[108:109], v[20:21]
	v_mul_f64 v[64:65], v[116:117], v[18:19]
	;; [unrolled: 1-line block ×3, first 2 shown]
	v_mad_u64_u32 v[69:70], null, s5, v162, v[55:56]
	v_mul_f64 v[70:71], v[108:109], v[22:23]
	scratch_load_b128 v[108:111], off, off offset:184 ; 16-byte Folded Reload
	v_fma_f64 v[8:9], v[98:99], v[8:9], v[56:57]
	v_fma_f64 v[10:11], v[98:99], v[10:11], -v[58:59]
	v_fma_f64 v[12:13], v[118:119], v[12:13], v[60:61]
	v_fma_f64 v[14:15], v[118:119], v[14:15], -v[62:63]
	;; [unrolled: 2-line block ×3, first 2 shown]
	v_fma_f64 v[22:23], v[106:107], v[22:23], -v[72:73]
	v_mov_b32_e32 v55, v69
	s_delay_alu instid0(VALU_DEP_1) | instskip(NEXT) | instid1(VALU_DEP_1)
	v_lshlrev_b64 v[46:47], 4, v[54:55]
	v_add_co_u32 v44, s0, v44, v46
	s_delay_alu instid0(VALU_DEP_1) | instskip(SKIP_1) | instid1(SALU_CYCLE_1)
	v_add_co_ci_u32_e64 v45, s0, v45, v47, s0
	s_mul_i32 s0, s5, 0x69
	s_add_i32 s1, s1, s0
	s_mul_i32 s0, s4, 0x69
	global_store_b128 v[44:45], v[0:3], off
	s_lshl_b64 s[6:7], s[0:1], 4
	s_delay_alu instid0(SALU_CYCLE_1) | instskip(NEXT) | instid1(VALU_DEP_1)
	v_add_co_u32 v46, s0, v44, s6
	v_add_co_ci_u32_e64 v47, s0, s7, v45, s0
	s_delay_alu instid0(VALU_DEP_2) | instskip(SKIP_1) | instid1(VALU_DEP_3)
	v_add_co_u32 v48, s0, v46, s6
	v_fma_f64 v[20:21], v[106:107], v[20:21], v[70:71]
	v_add_co_ci_u32_e64 v49, s0, s7, v47, s0
	v_mul_f64 v[8:9], v[8:9], s[2:3]
	v_mul_f64 v[10:11], v[10:11], s[2:3]
	v_mul_f64 v[12:13], v[12:13], s[2:3]
	v_mul_f64 v[14:15], v[14:15], s[2:3]
	v_mul_f64 v[16:17], v[16:17], s[2:3]
	v_mul_f64 v[18:19], v[18:19], s[2:3]
	v_mul_f64 v[22:23], v[22:23], s[2:3]
	v_add_co_u32 v50, s0, v48, s6
	s_delay_alu instid0(VALU_DEP_1) | instskip(SKIP_2) | instid1(VALU_DEP_1)
	v_add_co_ci_u32_e64 v51, s0, s7, v49, s0
	global_store_b128 v[46:47], v[4:7], off
	v_add_co_u32 v52, s0, v50, s6
	v_add_co_ci_u32_e64 v53, s0, s7, v51, s0
	s_delay_alu instid0(VALU_DEP_2) | instskip(NEXT) | instid1(VALU_DEP_1)
	v_add_co_u32 v0, s0, v52, s6
	v_add_co_ci_u32_e64 v1, s0, s7, v53, s0
	s_delay_alu instid0(VALU_DEP_2) | instskip(NEXT) | instid1(VALU_DEP_1)
	;; [unrolled: 3-line block ×4, first 2 shown]
	v_add_co_u32 v6, s0, v4, s6
	v_add_co_ci_u32_e64 v7, s0, s7, v5, s0
	v_mul_f64 v[20:21], v[20:21], s[2:3]
	global_store_b128 v[48:49], v[8:11], off
	v_add_co_u32 v8, s0, v6, s6
	s_delay_alu instid0(VALU_DEP_1)
	v_add_co_ci_u32_e64 v9, s0, s7, v7, s0
	s_clause 0x1
	global_store_b128 v[50:51], v[12:15], off
	global_store_b128 v[52:53], v[16:19], off
	;; [unrolled: 1-line block ×3, first 2 shown]
	v_add_co_u32 v0, s0, v8, s6
	s_delay_alu instid0(VALU_DEP_1)
	v_add_co_ci_u32_e64 v1, s0, s7, v9, s0
	s_waitcnt vmcnt(2)
	v_mul_f64 v[74:75], v[102:103], v[26:27]
	v_mul_f64 v[76:77], v[102:103], v[24:25]
	scratch_load_b128 v[102:105], off, off offset:152 ; 16-byte Folded Reload
	s_waitcnt vmcnt(2) lgkmcnt(1)
	v_mul_f64 v[86:87], v[122:123], v[38:39]
	v_mul_f64 v[88:89], v[122:123], v[36:37]
	scratch_load_b128 v[122:125], off, off offset:248 ; 16-byte Folded Reload
	v_fma_f64 v[24:25], v[100:101], v[24:25], v[74:75]
	s_waitcnt vmcnt(2)
	v_mul_f64 v[78:79], v[110:111], v[30:31]
	v_mul_f64 v[80:81], v[110:111], v[28:29]
	v_fma_f64 v[26:27], v[100:101], v[26:27], -v[76:77]
	v_fma_f64 v[36:37], v[120:121], v[36:37], v[86:87]
	v_fma_f64 v[38:39], v[120:121], v[38:39], -v[88:89]
	v_mul_f64 v[24:25], v[24:25], s[2:3]
	v_fma_f64 v[28:29], v[108:109], v[28:29], v[78:79]
	v_fma_f64 v[30:31], v[108:109], v[30:31], -v[80:81]
	v_mul_f64 v[26:27], v[26:27], s[2:3]
	v_mul_f64 v[36:37], v[36:37], s[2:3]
	;; [unrolled: 1-line block ×5, first 2 shown]
	s_waitcnt vmcnt(1)
	v_mul_f64 v[82:83], v[104:105], v[34:35]
	v_mul_f64 v[84:85], v[104:105], v[32:33]
	s_waitcnt vmcnt(0) lgkmcnt(0)
	v_mul_f64 v[90:91], v[124:125], v[42:43]
	v_mul_f64 v[92:93], v[124:125], v[40:41]
	s_delay_alu instid0(VALU_DEP_4) | instskip(NEXT) | instid1(VALU_DEP_4)
	v_fma_f64 v[32:33], v[102:103], v[32:33], v[82:83]
	v_fma_f64 v[34:35], v[102:103], v[34:35], -v[84:85]
	s_delay_alu instid0(VALU_DEP_4) | instskip(NEXT) | instid1(VALU_DEP_4)
	v_fma_f64 v[40:41], v[122:123], v[40:41], v[90:91]
	v_fma_f64 v[42:43], v[122:123], v[42:43], -v[92:93]
	s_delay_alu instid0(VALU_DEP_4) | instskip(NEXT) | instid1(VALU_DEP_4)
	v_mul_f64 v[32:33], v[32:33], s[2:3]
	v_mul_f64 v[34:35], v[34:35], s[2:3]
	s_delay_alu instid0(VALU_DEP_4) | instskip(NEXT) | instid1(VALU_DEP_4)
	v_mul_f64 v[40:41], v[40:41], s[2:3]
	v_mul_f64 v[42:43], v[42:43], s[2:3]
	global_store_b128 v[2:3], v[24:27], off
	global_store_b128 v[4:5], v[28:31], off
	;; [unrolled: 1-line block ×5, first 2 shown]
	s_and_b32 exec_lo, exec_lo, vcc_lo
	s_cbranch_execz .LBB0_23
; %bb.22:
	global_load_b128 v[2:5], v[112:113], off offset:880
	ds_load_b128 v[6:9], v134 offset:880
	ds_load_b128 v[10:13], v134 offset:2560
	s_mul_i32 s0, s5, 0xffffc1d0
	scratch_load_b64 v[16:17], off, off offset:72 ; 8-byte Folded Reload
	s_sub_i32 s0, s0, s4
	s_waitcnt vmcnt(1) lgkmcnt(1)
	v_mul_f64 v[14:15], v[8:9], v[4:5]
	v_mul_f64 v[4:5], v[6:7], v[4:5]
	s_delay_alu instid0(VALU_DEP_2) | instskip(NEXT) | instid1(VALU_DEP_2)
	v_fma_f64 v[6:7], v[6:7], v[2:3], v[14:15]
	v_fma_f64 v[4:5], v[2:3], v[8:9], -v[4:5]
	s_delay_alu instid0(VALU_DEP_2) | instskip(NEXT) | instid1(VALU_DEP_2)
	v_mul_f64 v[2:3], v[6:7], s[2:3]
	v_mul_f64 v[4:5], v[4:5], s[2:3]
	v_mad_u64_u32 v[6:7], null, 0xffffc1d0, s4, v[0:1]
	s_delay_alu instid0(VALU_DEP_1)
	v_add_nc_u32_e32 v7, s0, v7
	global_store_b128 v[6:7], v[2:5], off
	global_load_b128 v[0:3], v[112:113], off offset:2560
	s_waitcnt vmcnt(0) lgkmcnt(0)
	v_mul_f64 v[4:5], v[12:13], v[2:3]
	v_mul_f64 v[2:3], v[10:11], v[2:3]
	s_delay_alu instid0(VALU_DEP_2) | instskip(NEXT) | instid1(VALU_DEP_2)
	v_fma_f64 v[4:5], v[10:11], v[0:1], v[4:5]
	v_fma_f64 v[2:3], v[0:1], v[12:13], -v[2:3]
	v_add_co_u32 v12, vcc_lo, v6, s6
	v_add_co_ci_u32_e32 v13, vcc_lo, s7, v7, vcc_lo
	s_delay_alu instid0(VALU_DEP_4) | instskip(NEXT) | instid1(VALU_DEP_4)
	v_mul_f64 v[0:1], v[4:5], s[2:3]
	v_mul_f64 v[2:3], v[2:3], s[2:3]
	global_store_b128 v[12:13], v[0:3], off
	global_load_b128 v[0:3], v[16:17], off offset:144
	ds_load_b128 v[4:7], v134 offset:4240
	ds_load_b128 v[8:11], v134 offset:5920
	s_waitcnt vmcnt(0) lgkmcnt(1)
	v_mul_f64 v[14:15], v[6:7], v[2:3]
	v_mul_f64 v[2:3], v[4:5], v[2:3]
	s_delay_alu instid0(VALU_DEP_2) | instskip(NEXT) | instid1(VALU_DEP_2)
	v_fma_f64 v[4:5], v[4:5], v[0:1], v[14:15]
	v_fma_f64 v[2:3], v[0:1], v[6:7], -v[2:3]
	s_delay_alu instid0(VALU_DEP_2) | instskip(NEXT) | instid1(VALU_DEP_2)
	v_mul_f64 v[0:1], v[4:5], s[2:3]
	v_mul_f64 v[2:3], v[2:3], s[2:3]
	v_add_co_u32 v4, vcc_lo, v12, s6
	v_add_co_ci_u32_e32 v5, vcc_lo, s7, v13, vcc_lo
	s_delay_alu instid0(VALU_DEP_2) | instskip(NEXT) | instid1(VALU_DEP_2)
	v_add_co_u32 v12, vcc_lo, v4, s6
	v_add_co_ci_u32_e32 v13, vcc_lo, s7, v5, vcc_lo
	global_store_b128 v[4:5], v[0:3], off
	global_load_b128 v[0:3], v[16:17], off offset:1824
	s_waitcnt vmcnt(0) lgkmcnt(0)
	v_mul_f64 v[6:7], v[10:11], v[2:3]
	v_mul_f64 v[2:3], v[8:9], v[2:3]
	s_delay_alu instid0(VALU_DEP_2) | instskip(NEXT) | instid1(VALU_DEP_2)
	v_fma_f64 v[6:7], v[8:9], v[0:1], v[6:7]
	v_fma_f64 v[2:3], v[0:1], v[10:11], -v[2:3]
	s_delay_alu instid0(VALU_DEP_2) | instskip(NEXT) | instid1(VALU_DEP_2)
	v_mul_f64 v[0:1], v[6:7], s[2:3]
	v_mul_f64 v[2:3], v[2:3], s[2:3]
	global_store_b128 v[12:13], v[0:3], off
	global_load_b128 v[0:3], v[16:17], off offset:3504
	ds_load_b128 v[4:7], v134 offset:7600
	ds_load_b128 v[8:11], v134 offset:9280
	s_waitcnt vmcnt(0) lgkmcnt(1)
	v_mul_f64 v[14:15], v[6:7], v[2:3]
	v_mul_f64 v[2:3], v[4:5], v[2:3]
	s_delay_alu instid0(VALU_DEP_2) | instskip(SKIP_4) | instid1(VALU_DEP_3)
	v_fma_f64 v[4:5], v[4:5], v[0:1], v[14:15]
	scratch_load_b64 v[14:15], off, off offset:64 ; 8-byte Folded Reload
	v_fma_f64 v[2:3], v[0:1], v[6:7], -v[2:3]
	v_mul_f64 v[0:1], v[4:5], s[2:3]
	v_add_co_u32 v4, vcc_lo, v12, s6
	v_mul_f64 v[2:3], v[2:3], s[2:3]
	v_add_co_ci_u32_e32 v5, vcc_lo, s7, v13, vcc_lo
	s_delay_alu instid0(VALU_DEP_3) | instskip(NEXT) | instid1(VALU_DEP_2)
	v_add_co_u32 v12, vcc_lo, v4, s6
	v_add_co_ci_u32_e32 v13, vcc_lo, s7, v5, vcc_lo
	global_store_b128 v[4:5], v[0:3], off
	s_waitcnt vmcnt(0)
	global_load_b128 v[0:3], v[14:15], off offset:1088
	s_waitcnt vmcnt(0) lgkmcnt(0)
	v_mul_f64 v[6:7], v[10:11], v[2:3]
	v_mul_f64 v[2:3], v[8:9], v[2:3]
	s_delay_alu instid0(VALU_DEP_2) | instskip(NEXT) | instid1(VALU_DEP_2)
	v_fma_f64 v[6:7], v[8:9], v[0:1], v[6:7]
	v_fma_f64 v[2:3], v[0:1], v[10:11], -v[2:3]
	s_delay_alu instid0(VALU_DEP_2) | instskip(NEXT) | instid1(VALU_DEP_2)
	v_mul_f64 v[0:1], v[6:7], s[2:3]
	v_mul_f64 v[2:3], v[2:3], s[2:3]
	global_store_b128 v[12:13], v[0:3], off
	global_load_b128 v[0:3], v[14:15], off offset:2768
	ds_load_b128 v[4:7], v134 offset:10960
	ds_load_b128 v[8:11], v134 offset:12640
	scratch_load_b64 v[16:17], off, off offset:56 ; 8-byte Folded Reload
	s_waitcnt vmcnt(1) lgkmcnt(1)
	v_mul_f64 v[14:15], v[6:7], v[2:3]
	v_mul_f64 v[2:3], v[4:5], v[2:3]
	s_delay_alu instid0(VALU_DEP_2) | instskip(NEXT) | instid1(VALU_DEP_2)
	v_fma_f64 v[4:5], v[4:5], v[0:1], v[14:15]
	v_fma_f64 v[2:3], v[0:1], v[6:7], -v[2:3]
	s_delay_alu instid0(VALU_DEP_2) | instskip(NEXT) | instid1(VALU_DEP_2)
	v_mul_f64 v[0:1], v[4:5], s[2:3]
	v_mul_f64 v[2:3], v[2:3], s[2:3]
	v_add_co_u32 v4, vcc_lo, v12, s6
	v_add_co_ci_u32_e32 v5, vcc_lo, s7, v13, vcc_lo
	s_delay_alu instid0(VALU_DEP_2) | instskip(NEXT) | instid1(VALU_DEP_2)
	v_add_co_u32 v12, vcc_lo, v4, s6
	v_add_co_ci_u32_e32 v13, vcc_lo, s7, v5, vcc_lo
	global_store_b128 v[4:5], v[0:3], off
	s_waitcnt vmcnt(0)
	global_load_b128 v[0:3], v[16:17], off offset:352
	s_waitcnt vmcnt(0) lgkmcnt(0)
	v_mul_f64 v[6:7], v[10:11], v[2:3]
	v_mul_f64 v[2:3], v[8:9], v[2:3]
	s_delay_alu instid0(VALU_DEP_2) | instskip(NEXT) | instid1(VALU_DEP_2)
	v_fma_f64 v[6:7], v[8:9], v[0:1], v[6:7]
	v_fma_f64 v[2:3], v[0:1], v[10:11], -v[2:3]
	s_delay_alu instid0(VALU_DEP_2) | instskip(NEXT) | instid1(VALU_DEP_2)
	v_mul_f64 v[0:1], v[6:7], s[2:3]
	v_mul_f64 v[2:3], v[2:3], s[2:3]
	global_store_b128 v[12:13], v[0:3], off
	global_load_b128 v[0:3], v[16:17], off offset:2032
	ds_load_b128 v[4:7], v134 offset:14320
	ds_load_b128 v[8:11], v134 offset:16000
	s_waitcnt vmcnt(0) lgkmcnt(1)
	v_mul_f64 v[14:15], v[6:7], v[2:3]
	v_mul_f64 v[2:3], v[4:5], v[2:3]
	s_delay_alu instid0(VALU_DEP_2) | instskip(NEXT) | instid1(VALU_DEP_2)
	v_fma_f64 v[4:5], v[4:5], v[0:1], v[14:15]
	v_fma_f64 v[2:3], v[0:1], v[6:7], -v[2:3]
	s_delay_alu instid0(VALU_DEP_2) | instskip(NEXT) | instid1(VALU_DEP_2)
	v_mul_f64 v[0:1], v[4:5], s[2:3]
	v_mul_f64 v[2:3], v[2:3], s[2:3]
	v_add_co_u32 v4, vcc_lo, v12, s6
	v_add_co_ci_u32_e32 v5, vcc_lo, s7, v13, vcc_lo
	global_store_b128 v[4:5], v[0:3], off
	global_load_b128 v[0:3], v[16:17], off offset:3712
	s_waitcnt vmcnt(0) lgkmcnt(0)
	v_mul_f64 v[6:7], v[10:11], v[2:3]
	v_mul_f64 v[2:3], v[8:9], v[2:3]
	s_delay_alu instid0(VALU_DEP_2) | instskip(NEXT) | instid1(VALU_DEP_2)
	v_fma_f64 v[6:7], v[8:9], v[0:1], v[6:7]
	v_fma_f64 v[2:3], v[0:1], v[10:11], -v[2:3]
	v_add_co_u32 v8, vcc_lo, v4, s6
	v_add_co_ci_u32_e32 v9, vcc_lo, s7, v5, vcc_lo
	s_delay_alu instid0(VALU_DEP_4) | instskip(NEXT) | instid1(VALU_DEP_4)
	v_mul_f64 v[0:1], v[6:7], s[2:3]
	v_mul_f64 v[2:3], v[2:3], s[2:3]
	ds_load_b128 v[4:7], v134 offset:17680
	global_store_b128 v[8:9], v[0:3], off
	scratch_load_b64 v[0:1], off, off       ; 8-byte Folded Reload
	s_waitcnt vmcnt(0)
	global_load_b128 v[0:3], v[0:1], off offset:1296
	s_waitcnt vmcnt(0) lgkmcnt(0)
	v_mul_f64 v[10:11], v[6:7], v[2:3]
	v_mul_f64 v[2:3], v[4:5], v[2:3]
	s_delay_alu instid0(VALU_DEP_2) | instskip(NEXT) | instid1(VALU_DEP_2)
	v_fma_f64 v[4:5], v[4:5], v[0:1], v[10:11]
	v_fma_f64 v[2:3], v[0:1], v[6:7], -v[2:3]
	s_delay_alu instid0(VALU_DEP_2) | instskip(NEXT) | instid1(VALU_DEP_2)
	v_mul_f64 v[0:1], v[4:5], s[2:3]
	v_mul_f64 v[2:3], v[2:3], s[2:3]
	v_add_co_u32 v4, vcc_lo, v8, s6
	v_add_co_ci_u32_e32 v5, vcc_lo, s7, v9, vcc_lo
	global_store_b128 v[4:5], v[0:3], off
.LBB0_23:
	s_nop 0
	s_sendmsg sendmsg(MSG_DEALLOC_VGPRS)
	s_endpgm
	.section	.rodata,"a",@progbits
	.p2align	6, 0x0
	.amdhsa_kernel bluestein_single_fwd_len1155_dim1_dp_op_CI_CI
		.amdhsa_group_segment_fixed_size 18480
		.amdhsa_private_segment_fixed_size 644
		.amdhsa_kernarg_size 104
		.amdhsa_user_sgpr_count 15
		.amdhsa_user_sgpr_dispatch_ptr 0
		.amdhsa_user_sgpr_queue_ptr 0
		.amdhsa_user_sgpr_kernarg_segment_ptr 1
		.amdhsa_user_sgpr_dispatch_id 0
		.amdhsa_user_sgpr_private_segment_size 0
		.amdhsa_wavefront_size32 1
		.amdhsa_uses_dynamic_stack 0
		.amdhsa_enable_private_segment 1
		.amdhsa_system_sgpr_workgroup_id_x 1
		.amdhsa_system_sgpr_workgroup_id_y 0
		.amdhsa_system_sgpr_workgroup_id_z 0
		.amdhsa_system_sgpr_workgroup_info 0
		.amdhsa_system_vgpr_workitem_id 0
		.amdhsa_next_free_vgpr 256
		.amdhsa_next_free_sgpr 40
		.amdhsa_reserve_vcc 1
		.amdhsa_float_round_mode_32 0
		.amdhsa_float_round_mode_16_64 0
		.amdhsa_float_denorm_mode_32 3
		.amdhsa_float_denorm_mode_16_64 3
		.amdhsa_dx10_clamp 1
		.amdhsa_ieee_mode 1
		.amdhsa_fp16_overflow 0
		.amdhsa_workgroup_processor_mode 1
		.amdhsa_memory_ordered 1
		.amdhsa_forward_progress 0
		.amdhsa_shared_vgpr_count 0
		.amdhsa_exception_fp_ieee_invalid_op 0
		.amdhsa_exception_fp_denorm_src 0
		.amdhsa_exception_fp_ieee_div_zero 0
		.amdhsa_exception_fp_ieee_overflow 0
		.amdhsa_exception_fp_ieee_underflow 0
		.amdhsa_exception_fp_ieee_inexact 0
		.amdhsa_exception_int_div_zero 0
	.end_amdhsa_kernel
	.text
.Lfunc_end0:
	.size	bluestein_single_fwd_len1155_dim1_dp_op_CI_CI, .Lfunc_end0-bluestein_single_fwd_len1155_dim1_dp_op_CI_CI
                                        ; -- End function
	.section	.AMDGPU.csdata,"",@progbits
; Kernel info:
; codeLenInByte = 37468
; NumSgprs: 42
; NumVgprs: 256
; ScratchSize: 644
; MemoryBound: 0
; FloatMode: 240
; IeeeMode: 1
; LDSByteSize: 18480 bytes/workgroup (compile time only)
; SGPRBlocks: 5
; VGPRBlocks: 31
; NumSGPRsForWavesPerEU: 42
; NumVGPRsForWavesPerEU: 256
; Occupancy: 4
; WaveLimiterHint : 1
; COMPUTE_PGM_RSRC2:SCRATCH_EN: 1
; COMPUTE_PGM_RSRC2:USER_SGPR: 15
; COMPUTE_PGM_RSRC2:TRAP_HANDLER: 0
; COMPUTE_PGM_RSRC2:TGID_X_EN: 1
; COMPUTE_PGM_RSRC2:TGID_Y_EN: 0
; COMPUTE_PGM_RSRC2:TGID_Z_EN: 0
; COMPUTE_PGM_RSRC2:TIDIG_COMP_CNT: 0
	.text
	.p2alignl 7, 3214868480
	.fill 96, 4, 3214868480
	.type	__hip_cuid_4c17d1a4c26e8036,@object ; @__hip_cuid_4c17d1a4c26e8036
	.section	.bss,"aw",@nobits
	.globl	__hip_cuid_4c17d1a4c26e8036
__hip_cuid_4c17d1a4c26e8036:
	.byte	0                               ; 0x0
	.size	__hip_cuid_4c17d1a4c26e8036, 1

	.ident	"AMD clang version 19.0.0git (https://github.com/RadeonOpenCompute/llvm-project roc-6.4.0 25133 c7fe45cf4b819c5991fe208aaa96edf142730f1d)"
	.section	".note.GNU-stack","",@progbits
	.addrsig
	.addrsig_sym __hip_cuid_4c17d1a4c26e8036
	.amdgpu_metadata
---
amdhsa.kernels:
  - .args:
      - .actual_access:  read_only
        .address_space:  global
        .offset:         0
        .size:           8
        .value_kind:     global_buffer
      - .actual_access:  read_only
        .address_space:  global
        .offset:         8
        .size:           8
        .value_kind:     global_buffer
      - .actual_access:  read_only
        .address_space:  global
        .offset:         16
        .size:           8
        .value_kind:     global_buffer
      - .actual_access:  read_only
        .address_space:  global
        .offset:         24
        .size:           8
        .value_kind:     global_buffer
      - .actual_access:  read_only
        .address_space:  global
        .offset:         32
        .size:           8
        .value_kind:     global_buffer
      - .offset:         40
        .size:           8
        .value_kind:     by_value
      - .address_space:  global
        .offset:         48
        .size:           8
        .value_kind:     global_buffer
      - .address_space:  global
        .offset:         56
        .size:           8
        .value_kind:     global_buffer
      - .address_space:  global
        .offset:         64
        .size:           8
        .value_kind:     global_buffer
      - .address_space:  global
        .offset:         72
        .size:           8
        .value_kind:     global_buffer
      - .offset:         80
        .size:           4
        .value_kind:     by_value
      - .address_space:  global
        .offset:         88
        .size:           8
        .value_kind:     global_buffer
      - .address_space:  global
        .offset:         96
        .size:           8
        .value_kind:     global_buffer
    .group_segment_fixed_size: 18480
    .kernarg_segment_align: 8
    .kernarg_segment_size: 104
    .language:       OpenCL C
    .language_version:
      - 2
      - 0
    .max_flat_workgroup_size: 55
    .name:           bluestein_single_fwd_len1155_dim1_dp_op_CI_CI
    .private_segment_fixed_size: 644
    .sgpr_count:     42
    .sgpr_spill_count: 0
    .symbol:         bluestein_single_fwd_len1155_dim1_dp_op_CI_CI.kd
    .uniform_work_group_size: 1
    .uses_dynamic_stack: false
    .vgpr_count:     256
    .vgpr_spill_count: 172
    .wavefront_size: 32
    .workgroup_processor_mode: 1
amdhsa.target:   amdgcn-amd-amdhsa--gfx1100
amdhsa.version:
  - 1
  - 2
...

	.end_amdgpu_metadata
